;; amdgpu-corpus repo=ROCm/rocFFT kind=compiled arch=gfx1201 opt=O3
	.text
	.amdgcn_target "amdgcn-amd-amdhsa--gfx1201"
	.amdhsa_code_object_version 6
	.protected	bluestein_single_fwd_len153_dim1_sp_op_CI_CI ; -- Begin function bluestein_single_fwd_len153_dim1_sp_op_CI_CI
	.globl	bluestein_single_fwd_len153_dim1_sp_op_CI_CI
	.p2align	8
	.type	bluestein_single_fwd_len153_dim1_sp_op_CI_CI,@function
bluestein_single_fwd_len153_dim1_sp_op_CI_CI: ; @bluestein_single_fwd_len153_dim1_sp_op_CI_CI
; %bb.0:
	s_load_b128 s[4:7], s[0:1], 0x28
	v_mul_u32_u24_e32 v1, 0xf10, v0
	s_mov_b32 s2, exec_lo
	s_delay_alu instid0(VALU_DEP_1) | instskip(NEXT) | instid1(VALU_DEP_1)
	v_lshrrev_b32_e32 v1, 16, v1
	v_mad_co_u64_u32 v[48:49], null, ttmp9, 7, v[1:2]
	v_mov_b32_e32 v49, 0
	s_wait_kmcnt 0x0
	s_delay_alu instid0(VALU_DEP_1)
	v_cmpx_gt_u64_e64 s[4:5], v[48:49]
	s_cbranch_execz .LBB0_15
; %bb.1:
	v_mul_hi_u32 v2, 0x24924925, v48
	v_mul_lo_u16 v1, v1, 17
	s_clause 0x1
	s_load_b64 s[4:5], s[0:1], 0x0
	s_load_b64 s[12:13], s[0:1], 0x38
	s_delay_alu instid0(VALU_DEP_1) | instskip(NEXT) | instid1(VALU_DEP_3)
	v_sub_nc_u16 v0, v0, v1
	v_sub_nc_u32_e32 v3, v48, v2
	s_delay_alu instid0(VALU_DEP_2) | instskip(SKIP_1) | instid1(VALU_DEP_3)
	v_and_b32_e32 v68, 0xffff, v0
	v_cmp_gt_u16_e32 vcc_lo, 9, v0
	v_lshrrev_b32_e32 v3, 1, v3
	s_delay_alu instid0(VALU_DEP_3) | instskip(SKIP_1) | instid1(VALU_DEP_3)
	v_lshlrev_b32_e32 v66, 3, v68
	v_or_b32_e32 v65, 0x90, v68
	v_add_nc_u32_e32 v2, v3, v2
	s_delay_alu instid0(VALU_DEP_1) | instskip(NEXT) | instid1(VALU_DEP_1)
	v_lshrrev_b32_e32 v2, 2, v2
	v_mul_lo_u32 v2, v2, 7
	s_delay_alu instid0(VALU_DEP_1) | instskip(NEXT) | instid1(VALU_DEP_1)
	v_sub_nc_u32_e32 v1, v48, v2
	v_mul_u32_u24_e32 v67, 0x99, v1
	s_delay_alu instid0(VALU_DEP_1)
	v_lshlrev_b32_e32 v69, 3, v67
	s_and_saveexec_b32 s3, vcc_lo
	s_cbranch_execz .LBB0_3
; %bb.2:
	s_load_b64 s[8:9], s[0:1], 0x18
	s_delay_alu instid0(VALU_DEP_1)
	v_lshl_add_u32 v76, v68, 3, v69
	s_wait_kmcnt 0x0
	s_load_b128 s[8:11], s[8:9], 0x0
	s_clause 0x7
	global_load_b64 v[4:5], v66, s[4:5]
	global_load_b64 v[6:7], v66, s[4:5] offset:72
	global_load_b64 v[8:9], v66, s[4:5] offset:144
	;; [unrolled: 1-line block ×7, first 2 shown]
	s_wait_kmcnt 0x0
	v_mad_co_u64_u32 v[0:1], null, s10, v48, 0
	v_mad_co_u64_u32 v[2:3], null, s8, v68, 0
	s_delay_alu instid0(VALU_DEP_1) | instskip(SKIP_1) | instid1(VALU_DEP_1)
	v_mad_co_u64_u32 v[20:21], null, s11, v48, v[1:2]
	v_mad_co_u64_u32 v[21:22], null, s8, v65, 0
	v_dual_mov_b32 v1, v20 :: v_dual_mov_b32 v20, v22
	s_delay_alu instid0(VALU_DEP_1)
	v_lshlrev_b64_e32 v[0:1], 3, v[0:1]
	s_wait_loadcnt 0x7
	v_mad_co_u64_u32 v[23:24], null, s9, v68, v[3:4]
	s_clause 0x6
	global_load_b64 v[24:25], v66, s[4:5] offset:576
	global_load_b64 v[26:27], v66, s[4:5] offset:648
	;; [unrolled: 1-line block ×7, first 2 shown]
	v_mov_b32_e32 v3, v23
	v_mad_co_u64_u32 v[22:23], null, s9, v65, v[20:21]
	v_add_co_u32 v23, s2, s6, v0
	s_delay_alu instid0(VALU_DEP_3) | instskip(SKIP_2) | instid1(VALU_DEP_2)
	v_lshlrev_b64_e32 v[2:3], 3, v[2:3]
	v_add_co_ci_u32_e64 v38, s2, s7, v1, s2
	s_mul_u64 s[8:9], s[8:9], 0x48
	v_add_co_u32 v0, s2, v23, v2
	s_wait_alu 0xf1ff
	s_delay_alu instid0(VALU_DEP_2)
	v_add_co_ci_u32_e64 v1, s2, v38, v3, s2
	v_lshlrev_b64_e32 v[2:3], 3, v[21:22]
	s_wait_alu 0xfffe
	v_add_co_u32 v20, s2, v0, s8
	s_wait_alu 0xf1ff
	v_add_co_ci_u32_e64 v21, s2, s9, v1, s2
	global_load_b64 v[0:1], v[0:1], off
	v_add_co_u32 v2, s2, v23, v2
	s_wait_alu 0xf1ff
	v_add_co_ci_u32_e64 v3, s2, v38, v3, s2
	v_add_co_u32 v22, s2, v20, s8
	s_wait_alu 0xf1ff
	v_add_co_ci_u32_e64 v23, s2, s9, v21, s2
	global_load_b64 v[2:3], v[2:3], off
	v_add_co_u32 v38, s2, v22, s8
	s_wait_alu 0xf1ff
	v_add_co_ci_u32_e64 v39, s2, s9, v23, s2
	s_delay_alu instid0(VALU_DEP_2) | instskip(SKIP_1) | instid1(VALU_DEP_2)
	v_add_co_u32 v40, s2, v38, s8
	s_wait_alu 0xf1ff
	v_add_co_ci_u32_e64 v41, s2, s9, v39, s2
	s_clause 0x2
	global_load_b64 v[20:21], v[20:21], off
	global_load_b64 v[22:23], v[22:23], off
	;; [unrolled: 1-line block ×3, first 2 shown]
	v_add_co_u32 v42, s2, v40, s8
	s_wait_alu 0xf1ff
	v_add_co_ci_u32_e64 v43, s2, s9, v41, s2
	global_load_b64 v[40:41], v[40:41], off
	v_add_co_u32 v44, s2, v42, s8
	s_wait_alu 0xf1ff
	v_add_co_ci_u32_e64 v45, s2, s9, v43, s2
	global_load_b64 v[42:43], v[42:43], off
	;; [unrolled: 4-line block ×11, first 2 shown]
	s_clause 0x1
	global_load_b64 v[70:71], v66, s[4:5] offset:1008
	global_load_b64 v[72:73], v66, s[4:5] offset:1080
	global_load_b64 v[63:64], v[63:64], off
	s_wait_loadcnt 0x12
	v_mul_f32_e32 v74, v1, v5
	v_mul_f32_e32 v75, v0, v5
	s_delay_alu instid0(VALU_DEP_2) | instskip(SKIP_2) | instid1(VALU_DEP_3)
	v_dual_fmac_f32 v74, v0, v4 :: v_dual_add_nc_u32 v77, v69, v66
	s_wait_loadcnt 0x10
	v_dual_mul_f32 v0, v21, v7 :: v_dual_mul_f32 v5, v3, v37
	v_fma_f32 v75, v1, v4, -v75
	s_wait_loadcnt 0xf
	v_dual_mul_f32 v1, v20, v7 :: v_dual_mul_f32 v4, v22, v9
	v_mul_f32_e32 v7, v23, v9
	v_dual_mul_f32 v37, v2, v37 :: v_dual_fmac_f32 v0, v20, v6
	v_fmac_f32_e32 v5, v2, v36
	s_delay_alu instid0(VALU_DEP_4)
	v_fma_f32 v1, v21, v6, -v1
	s_wait_loadcnt 0xe
	v_mul_f32_e32 v2, v38, v11
	v_fmac_f32_e32 v7, v22, v8
	v_fma_f32 v8, v23, v8, -v4
	v_mul_f32_e32 v6, v39, v11
	ds_store_b64 v76, v[74:75]
	s_wait_loadcnt 0xd
	v_mul_f32_e32 v9, v41, v13
	s_wait_loadcnt 0xb
	v_mul_f32_e32 v11, v45, v17
	v_mul_f32_e32 v4, v44, v17
	ds_store_2addr_b64 v77, v[0:1], v[7:8] offset0:9 offset1:18
	v_fma_f32 v7, v39, v10, -v2
	v_dual_mul_f32 v1, v40, v13 :: v_dual_mul_f32 v2, v42, v15
	v_mul_f32_e32 v0, v43, v15
	v_dual_fmac_f32 v6, v38, v10 :: v_dual_fmac_f32 v9, v40, v12
	s_delay_alu instid0(VALU_DEP_3) | instskip(NEXT) | instid1(VALU_DEP_4)
	v_fma_f32 v10, v41, v12, -v1
	v_fma_f32 v1, v43, v14, -v2
	s_delay_alu instid0(VALU_DEP_4)
	v_fmac_f32_e32 v0, v42, v14
	v_fma_f32 v12, v45, v16, -v4
	s_wait_loadcnt 0xa
	v_dual_mul_f32 v8, v47, v19 :: v_dual_fmac_f32 v11, v44, v16
	v_mul_f32_e32 v2, v46, v19
	ds_store_2addr_b64 v77, v[6:7], v[9:10] offset0:27 offset1:36
	s_wait_loadcnt 0x9
	v_mul_f32_e32 v10, v50, v25
	v_fmac_f32_e32 v8, v46, v18
	ds_store_2addr_b64 v77, v[0:1], v[11:12] offset0:45 offset1:54
	v_mul_f32_e32 v1, v49, v25
	v_fma_f32 v9, v47, v18, -v2
	s_wait_loadcnt 0x8
	v_mul_f32_e32 v2, v51, v27
	s_wait_loadcnt 0x7
	v_mul_f32_e32 v4, v53, v29
	v_mul_f32_e32 v0, v52, v27
	v_fma_f32 v11, v50, v24, -v1
	v_mul_f32_e32 v12, v54, v29
	v_fma_f32 v1, v52, v26, -v2
	v_fma_f32 v13, v54, v28, -v4
	s_wait_loadcnt 0x6
	v_mul_f32_e32 v2, v55, v31
	s_wait_loadcnt 0x5
	v_mul_f32_e32 v4, v57, v33
	v_mul_f32_e32 v14, v56, v31
	;; [unrolled: 1-line block ×3, first 2 shown]
	v_fmac_f32_e32 v10, v49, v24
	v_fma_f32 v15, v56, v30, -v2
	s_wait_loadcnt 0x4
	v_mul_f32_e32 v18, v60, v35
	v_fma_f32 v17, v58, v32, -v4
	v_mul_f32_e32 v2, v59, v35
	s_wait_loadcnt 0x2
	v_mul_f32_e32 v20, v62, v71
	v_mul_f32_e32 v4, v61, v71
	s_wait_loadcnt 0x0
	v_mul_f32_e32 v22, v64, v73
	v_mul_f32_e32 v6, v63, v73
	v_fmac_f32_e32 v0, v51, v26
	v_fmac_f32_e32 v12, v53, v28
	;; [unrolled: 1-line block ×5, first 2 shown]
	v_fma_f32 v19, v60, v34, -v2
	v_fmac_f32_e32 v20, v61, v70
	v_fma_f32 v21, v62, v70, -v4
	v_fmac_f32_e32 v22, v63, v72
	v_fma_f32 v23, v64, v72, -v6
	v_fma_f32 v6, v3, v36, -v37
	ds_store_2addr_b64 v77, v[8:9], v[10:11] offset0:63 offset1:72
	ds_store_2addr_b64 v77, v[0:1], v[12:13] offset0:81 offset1:90
	;; [unrolled: 1-line block ×5, first 2 shown]
.LBB0_3:
	s_or_b32 exec_lo, exec_lo, s3
	s_clause 0x1
	s_load_b64 s[2:3], s[0:1], 0x20
	s_load_b64 s[6:7], s[0:1], 0x8
	v_mov_b32_e32 v16, 0
	v_mov_b32_e32 v17, 0
	global_wb scope:SCOPE_SE
	s_wait_dscnt 0x0
	s_wait_kmcnt 0x0
	s_barrier_signal -1
	s_barrier_wait -1
	global_inv scope:SCOPE_SE
                                        ; implicit-def: $vgpr27
                                        ; implicit-def: $vgpr20
                                        ; implicit-def: $vgpr28
                                        ; implicit-def: $vgpr32
                                        ; implicit-def: $vgpr12
                                        ; implicit-def: $vgpr38
                                        ; implicit-def: $vgpr42
                                        ; implicit-def: $vgpr46
	s_and_saveexec_b32 s0, vcc_lo
	s_cbranch_execz .LBB0_5
; %bb.4:
	v_lshl_add_u32 v0, v67, 3, v66
	ds_load_2addr_b64 v[16:19], v0 offset1:9
	ds_load_2addr_b64 v[44:47], v0 offset0:18 offset1:27
	ds_load_2addr_b64 v[40:43], v0 offset0:36 offset1:45
	;; [unrolled: 1-line block ×7, first 2 shown]
	ds_load_b64 v[12:13], v0 offset:1152
.LBB0_5:
	s_wait_alu 0xfffe
	s_or_b32 exec_lo, exec_lo, s0
	s_wait_dscnt 0x0
	v_dual_sub_f32 v9, v19, v13 :: v_dual_sub_f32 v8, v18, v12
	v_add_f32_e32 v85, v12, v18
	v_dual_sub_f32 v11, v44, v34 :: v_dual_sub_f32 v138, v41, v31
	v_add_f32_e32 v93, v31, v41
	s_delay_alu instid0(VALU_DEP_4) | instskip(SKIP_2) | instid1(VALU_DEP_3)
	v_dual_mul_f32 v51, 0xbeb8f4ab, v9 :: v_dual_sub_f32 v14, v45, v35
	v_mul_f32_e32 v52, 0xbeb8f4ab, v8
	v_dual_add_f32 v77, v34, v44 :: v_dual_sub_f32 v70, v47, v33
	v_fmamk_f32 v0, v85, 0x3f6eb680, v51
	v_add_f32_e32 v87, v13, v19
	v_dual_mul_f32 v53, 0xbf2c7751, v14 :: v_dual_mul_f32 v60, 0xbf2c7751, v8
	v_dual_add_f32 v79, v35, v45 :: v_dual_mul_f32 v54, 0xbf2c7751, v11
	s_delay_alu instid0(VALU_DEP_4) | instskip(NEXT) | instid1(VALU_DEP_4)
	v_add_f32_e32 v0, v0, v16
	v_fma_f32 v1, 0x3f6eb680, v87, -v52
	s_delay_alu instid0(VALU_DEP_4) | instskip(SKIP_2) | instid1(VALU_DEP_4)
	v_dual_fmamk_f32 v2, v77, 0x3f3d2fb0, v53 :: v_dual_sub_f32 v15, v46, v32
	v_add_f32_e32 v82, v32, v46
	v_dual_mul_f32 v55, 0xbf65296c, v70 :: v_dual_add_f32 v84, v33, v47
	v_add_f32_e32 v1, v1, v17
	s_delay_alu instid0(VALU_DEP_4)
	v_dual_mul_f32 v59, 0xbf2c7751, v9 :: v_dual_add_f32 v0, v2, v0
	v_fma_f32 v3, 0x3f3d2fb0, v79, -v54
	v_mul_f32_e32 v56, 0xbf65296c, v15
	v_dual_fmamk_f32 v2, v82, 0x3ee437d1, v55 :: v_dual_sub_f32 v137, v40, v30
	v_dual_add_f32 v92, v30, v40 :: v_dual_mul_f32 v57, 0xbf7ee86f, v138
	v_sub_f32_e32 v149, v43, v29
	v_add_f32_e32 v1, v3, v1
	v_fma_f32 v3, 0x3ee437d1, v84, -v56
	v_dual_mul_f32 v58, 0xbf7ee86f, v137 :: v_dual_add_f32 v97, v28, v42
	v_add_f32_e32 v0, v2, v0
	s_delay_alu instid0(VALU_DEP_3) | instskip(SKIP_3) | instid1(VALU_DEP_4)
	v_dual_fmamk_f32 v2, v92, 0x3dbcf732, v57 :: v_dual_add_f32 v1, v3, v1
	v_dual_sub_f32 v148, v42, v28 :: v_dual_mul_f32 v61, 0xbf763a35, v149
	v_dual_sub_f32 v158, v37, v23 :: v_dual_sub_f32 v161, v39, v21
	v_fma_f32 v3, 0x3dbcf732, v93, -v58
	v_add_f32_e32 v0, v2, v0
	v_dual_add_f32 v98, v29, v43 :: v_dual_sub_f32 v157, v36, v22
	v_dual_fmamk_f32 v2, v97, 0xbe8c1d8e, v61 :: v_dual_add_f32 v99, v22, v36
	v_dual_add_f32 v100, v23, v37 :: v_dual_mul_f32 v63, 0xbf4c4adb, v158
	v_add_f32_e32 v1, v3, v1
	s_delay_alu instid0(VALU_DEP_4) | instskip(NEXT) | instid1(VALU_DEP_4)
	v_dual_mul_f32 v64, 0xbf4c4adb, v157 :: v_dual_add_f32 v101, v20, v38
	v_dual_add_f32 v0, v2, v0 :: v_dual_mul_f32 v71, 0xbf06c442, v161
	s_delay_alu instid0(VALU_DEP_4) | instskip(SKIP_2) | instid1(VALU_DEP_3)
	v_dual_fmamk_f32 v2, v99, 0xbf1a4643, v63 :: v_dual_sub_f32 v169, v24, v26
	v_dual_sub_f32 v170, v25, v27 :: v_dual_mul_f32 v83, 0xbf7ee86f, v14
	v_dual_mul_f32 v90, 0xbf4c4adb, v15 :: v_dual_mul_f32 v105, 0xbf4c4adb, v14
	v_dual_mul_f32 v141, 0x3f06c442, v14 :: v_dual_add_f32 v0, v2, v0
	v_dual_add_f32 v111, v27, v25 :: v_dual_add_f32 v102, v21, v39
	s_delay_alu instid0(VALU_DEP_4) | instskip(SKIP_1) | instid1(VALU_DEP_4)
	v_dual_mul_f32 v73, 0xbe3c28d5, v170 :: v_dual_add_f32 v110, v26, v24
	v_mul_f32_e32 v91, 0xbe3c28d5, v137
	v_fmamk_f32 v142, v77, 0xbf59a7d5, v141
	v_fmamk_f32 v6, v77, 0xbf1a4643, v105
	;; [unrolled: 1-line block ×3, first 2 shown]
	v_mul_f32_e32 v62, 0xbf763a35, v148
	v_fma_f32 v5, 0x3f3d2fb0, v87, -v60
	v_mul_f32_e32 v94, 0xbf7ee86f, v11
	s_delay_alu instid0(VALU_DEP_4)
	v_dual_mul_f32 v89, 0x3f06c442, v149 :: v_dual_add_f32 v0, v2, v0
	v_fmamk_f32 v2, v110, 0xbf7ba420, v73
	v_fma_f32 v3, 0xbe8c1d8e, v98, -v62
	v_mul_f32_e32 v74, 0xbe3c28d5, v169
	v_mul_f32_e32 v95, 0x3f06c442, v148
	v_mul_f32_e32 v103, 0xbf65296c, v9
	v_dual_add_f32 v49, v2, v0 :: v_dual_add_f32 v2, v5, v17
	v_fma_f32 v5, 0x3dbcf732, v79, -v94
	v_add_f32_e32 v1, v3, v1
	v_fma_f32 v3, 0xbf1a4643, v100, -v64
	v_sub_f32_e32 v160, v38, v20
	v_mul_f32_e32 v112, 0x3e3c28d5, v70
	v_add_f32_e32 v2, v5, v2
	v_fma_f32 v5, 0xbf1a4643, v84, -v90
	s_delay_alu instid0(VALU_DEP_4) | instskip(SKIP_2) | instid1(VALU_DEP_4)
	v_dual_add_f32 v1, v3, v1 :: v_dual_mul_f32 v72, 0xbf06c442, v160
	v_mul_f32_e32 v96, 0x3f763a35, v157
	v_mul_f32_e32 v80, 0x3f65296c, v160
	v_add_f32_e32 v2, v5, v2
	v_fma_f32 v5, 0xbf7ba420, v93, -v91
	v_fma_f32 v3, 0xbf59a7d5, v102, -v72
	v_mul_f32_e32 v106, 0xbeb8f4ab, v158
	v_mul_f32_e32 v107, 0xbf7ee86f, v161
	v_dual_mul_f32 v86, 0xbf4c4adb, v70 :: v_dual_mul_f32 v117, 0xbf4c4adb, v11
	v_add_f32_e32 v2, v5, v2
	v_fma_f32 v5, 0xbf59a7d5, v98, -v95
	v_add_f32_e32 v1, v3, v1
	v_fma_f32 v3, 0xbf7ba420, v111, -v74
	v_mul_f32_e32 v88, 0xbe3c28d5, v138
	v_mul_f32_e32 v75, 0x3f763a35, v158
	v_add_f32_e32 v2, v5, v2
	v_fma_f32 v5, 0xbe8c1d8e, v100, -v96
	v_add_f32_e32 v50, v3, v1
	v_dual_mul_f32 v78, 0x3eb8f4ab, v170 :: v_dual_mul_f32 v81, 0x3eb8f4ab, v169
	v_mul_f32_e32 v108, 0xbf06c442, v170
	s_delay_alu instid0(VALU_DEP_4)
	v_add_f32_e32 v1, v5, v2
	v_fma_f32 v2, 0x3ee437d1, v102, -v80
	v_fmamk_f32 v4, v85, 0x3f3d2fb0, v59
	v_fmamk_f32 v3, v110, 0x3f6eb680, v78
	v_mul_f32_e32 v76, 0x3f65296c, v161
	v_mul_f32_e32 v109, 0x3f763a35, v138
	s_delay_alu instid0(VALU_DEP_4) | instskip(SKIP_4) | instid1(VALU_DEP_4)
	v_dual_add_f32 v1, v2, v1 :: v_dual_add_f32 v4, v4, v16
	v_fmamk_f32 v2, v85, 0x3ee437d1, v103
	v_fmamk_f32 v0, v77, 0x3dbcf732, v83
	;; [unrolled: 1-line block ×3, first 2 shown]
	v_dual_mul_f32 v104, 0x3f2c7751, v149 :: v_dual_mul_f32 v155, 0x3f2c7751, v15
	v_add_f32_e32 v5, v2, v16
	s_delay_alu instid0(VALU_DEP_4)
	v_add_f32_e32 v0, v0, v4
	v_fmamk_f32 v4, v82, 0xbf1a4643, v86
	v_mul_f32_e32 v119, 0x3f763a35, v137
	v_mul_f32_e32 v116, 0xbf65296c, v8
	v_mul_f32_e32 v123, 0xbf7ee86f, v9
	v_mul_f32_e32 v118, 0x3e3c28d5, v15
	v_add_f32_e32 v0, v4, v0
	v_fmamk_f32 v4, v92, 0xbf7ba420, v88
	v_mul_f32_e32 v115, 0xbf7ee86f, v160
	v_mul_f32_e32 v126, 0xbe3c28d5, v14
	v_dual_mul_f32 v120, 0x3f2c7751, v148 :: v_dual_mul_f32 v135, 0x3f2c7751, v169
	s_delay_alu instid0(VALU_DEP_4)
	v_add_f32_e32 v0, v4, v0
	v_fmamk_f32 v4, v97, 0xbf59a7d5, v89
	v_mul_f32_e32 v114, 0xbeb8f4ab, v157
	v_mul_f32_e32 v121, 0x3f763a35, v70
	;; [unrolled: 1-line block ×4, first 2 shown]
	v_add_f32_e32 v0, v4, v0
	v_fmamk_f32 v4, v99, 0xbe8c1d8e, v75
	v_mul_f32_e32 v133, 0xbf7ee86f, v8
	v_dual_mul_f32 v124, 0xbf65296c, v149 :: v_dual_mul_f32 v145, 0xbf65296c, v138
	v_fma_f32 v159, 0x3dbcf732, v100, -v150
	s_delay_alu instid0(VALU_DEP_4)
	v_add_f32_e32 v0, v4, v0
	v_fmamk_f32 v4, v101, 0x3ee437d1, v76
	v_mul_f32_e32 v134, 0xbe3c28d5, v11
	v_mul_f32_e32 v136, 0x3f763a35, v15
	;; [unrolled: 1-line block ×4, first 2 shown]
	v_add_f32_e32 v0, v4, v0
	v_fma_f32 v4, 0x3f6eb680, v111, -v81
	v_fma_f32 v10, 0xbf7ba420, v79, -v134
	v_mul_f32_e32 v129, 0xbf65296c, v148
	v_fma_f32 v167, 0xbe8c1d8e, v79, -v172
	v_dual_add_f32 v2, v3, v0 :: v_dual_mul_f32 v113, 0xbf06c442, v169
	v_fma_f32 v0, 0x3ee437d1, v87, -v116
	v_add_f32_e32 v3, v6, v5
	v_fmamk_f32 v5, v82, 0xbf7ba420, v112
	v_fma_f32 v6, 0xbf1a4643, v79, -v117
	v_mul_f32_e32 v132, 0x3eb8f4ab, v137
	v_dual_add_f32 v0, v0, v17 :: v_dual_mul_f32 v127, 0xbf06c442, v158
	s_delay_alu instid0(VALU_DEP_4) | instskip(SKIP_2) | instid1(VALU_DEP_4)
	v_add_f32_e32 v3, v5, v3
	v_fmamk_f32 v5, v92, 0xbe8c1d8e, v109
	v_mul_f32_e32 v130, 0xbf06c442, v157
	v_add_f32_e32 v0, v6, v0
	v_fma_f32 v6, 0xbf7ba420, v84, -v118
	v_dual_mul_f32 v182, 0x3f65296c, v14 :: v_dual_mul_f32 v199, 0x3f65296c, v157
	v_add_f32_e32 v3, v5, v3
	s_delay_alu instid0(VALU_DEP_3) | instskip(SKIP_3) | instid1(VALU_DEP_4)
	v_dual_fmamk_f32 v5, v97, 0x3f3d2fb0, v104 :: v_dual_add_f32 v0, v6, v0
	v_fma_f32 v6, 0xbe8c1d8e, v93, -v119
	v_mul_f32_e32 v125, 0x3f4c4adb, v161
	v_mul_f32_e32 v131, 0x3f4c4adb, v160
	v_add_f32_e32 v3, v5, v3
	s_delay_alu instid0(VALU_DEP_4) | instskip(SKIP_2) | instid1(VALU_DEP_3)
	v_dual_fmamk_f32 v5, v99, 0x3f6eb680, v106 :: v_dual_add_f32 v0, v6, v0
	v_fma_f32 v6, 0x3f3d2fb0, v98, -v120
	v_fmamk_f32 v184, v77, 0x3ee437d1, v182
	v_dual_mul_f32 v140, 0xbf763a35, v9 :: v_dual_add_f32 v3, v5, v3
	s_delay_alu instid0(VALU_DEP_3) | instskip(SKIP_2) | instid1(VALU_DEP_3)
	v_dual_fmamk_f32 v5, v101, 0x3dbcf732, v107 :: v_dual_add_f32 v0, v6, v0
	v_fma_f32 v6, 0x3f6eb680, v100, -v114
	v_mul_f32_e32 v146, 0x3f2c7751, v70
	v_dual_mul_f32 v154, 0xbf763a35, v8 :: v_dual_add_f32 v5, v5, v3
	v_add_f32_e32 v3, v4, v1
	s_delay_alu instid0(VALU_DEP_4) | instskip(SKIP_4) | instid1(VALU_DEP_4)
	v_add_f32_e32 v1, v6, v0
	v_fma_f32 v4, 0x3dbcf732, v102, -v115
	v_fma_f32 v6, 0x3dbcf732, v87, -v133
	v_dual_add_f32 v0, v7, v5 :: v_dual_fmamk_f32 v7, v77, 0xbf7ba420, v126
	v_fma_f32 v5, 0xbf59a7d5, v111, -v113
	v_dual_add_f32 v1, v4, v1 :: v_dual_fmamk_f32 v4, v85, 0x3dbcf732, v123
	s_delay_alu instid0(VALU_DEP_4) | instskip(SKIP_2) | instid1(VALU_DEP_4)
	v_add_f32_e32 v6, v6, v17
	v_mul_f32_e32 v156, 0x3f06c442, v11
	v_mul_f32_e32 v153, 0xbf65296c, v137
	v_dual_add_f32 v1, v5, v1 :: v_dual_add_f32 v4, v4, v16
	s_delay_alu instid0(VALU_DEP_4)
	v_add_f32_e32 v6, v10, v6
	v_fma_f32 v10, 0xbe8c1d8e, v84, -v136
	v_mul_f32_e32 v144, 0xbe3c28d5, v149
	v_fma_f32 v143, 0x3f3d2fb0, v84, -v155
	v_dual_add_f32 v4, v7, v4 :: v_dual_fmamk_f32 v7, v82, 0xbe8c1d8e, v121
	v_fma_f32 v147, 0x3ee437d1, v93, -v153
	v_mul_f32_e32 v152, 0xbe3c28d5, v148
	v_dual_mul_f32 v162, 0xbf4c4adb, v9 :: v_dual_mul_f32 v171, 0xbf4c4adb, v8
	s_delay_alu instid0(VALU_DEP_4) | instskip(SKIP_3) | instid1(VALU_DEP_4)
	v_dual_add_f32 v4, v7, v4 :: v_dual_fmamk_f32 v7, v92, 0x3f6eb680, v122
	v_mul_f32_e32 v164, 0x3f763a35, v14
	v_dual_mul_f32 v174, 0xbf06c442, v137 :: v_dual_mul_f32 v197, 0xbf06c442, v8
	v_mul_f32_e32 v180, 0xbf7ee86f, v70
	v_dual_add_f32 v4, v7, v4 :: v_dual_fmamk_f32 v7, v97, 0x3ee437d1, v124
	s_delay_alu instid0(VALU_DEP_4)
	v_fmamk_f32 v166, v77, 0xbe8c1d8e, v164
	v_mul_f32_e32 v173, 0xbeb8f4ab, v15
	v_fma_f32 v177, 0xbf59a7d5, v93, -v174
	v_fma_f32 v186, 0xbf59a7d5, v87, -v197
	v_add_f32_e32 v4, v7, v4
	v_dual_fmamk_f32 v7, v99, 0xbf59a7d5, v127 :: v_dual_add_f32 v6, v10, v6
	v_fma_f32 v10, 0x3f6eb680, v93, -v132
	v_fma_f32 v175, 0x3f6eb680, v84, -v173
	v_mul_f32_e32 v194, 0xbf7ee86f, v15
	s_delay_alu instid0(VALU_DEP_4) | instskip(NEXT) | instid1(VALU_DEP_4)
	v_dual_add_f32 v4, v7, v4 :: v_dual_fmamk_f32 v7, v101, 0xbf1a4643, v125
	v_add_f32_e32 v6, v10, v6
	v_fma_f32 v10, 0x3ee437d1, v98, -v129
	v_mul_f32_e32 v192, 0xbeb8f4ab, v148
	v_mul_f32_e32 v202, 0xbe3c28d5, v8
	v_dual_add_f32 v4, v7, v4 :: v_dual_fmamk_f32 v7, v110, 0x3f3d2fb0, v128
	s_delay_alu instid0(VALU_DEP_4)
	v_add_f32_e32 v6, v10, v6
	v_fma_f32 v10, 0xbf59a7d5, v100, -v130
	v_mul_f32_e32 v196, 0xbe3c28d5, v157
	v_mul_f32_e32 v204, 0xbf06c442, v15
	;; [unrolled: 1-line block ×3, first 2 shown]
	global_wb scope:SCOPE_SE
	v_add_f32_e32 v5, v10, v6
	v_fma_f32 v6, 0xbf1a4643, v102, -v131
	v_fma_f32 v10, 0x3f3d2fb0, v111, -v135
	s_barrier_signal -1
	s_barrier_wait -1
	global_inv scope:SCOPE_SE
	v_dual_add_f32 v5, v6, v5 :: v_dual_fmamk_f32 v6, v85, 0xbe8c1d8e, v140
	v_mul_f32_e32 v193, 0x3f4c4adb, v137
	v_mul_f32_e32 v181, 0xbf06c442, v9
	v_mul_f32_e32 v195, 0x3f65296c, v11
	v_mul_f32_e32 v203, 0x3eb8f4ab, v11
	v_add_f32_e32 v139, v6, v16
	v_add_f32_e32 v6, v7, v4
	v_fma_f32 v4, 0xbe8c1d8e, v87, -v154
	v_fma_f32 v188, 0x3ee437d1, v79, -v195
	;; [unrolled: 1-line block ×3, first 2 shown]
	v_add_f32_e32 v7, v142, v139
	s_delay_alu instid0(VALU_DEP_4) | instskip(SKIP_3) | instid1(VALU_DEP_4)
	v_dual_fmamk_f32 v139, v82, 0x3f3d2fb0, v146 :: v_dual_add_f32 v4, v4, v17
	v_fma_f32 v142, 0xbf59a7d5, v79, -v156
	v_fma_f32 v198, 0x3f6eb680, v79, -v203
	v_mul_f32_e32 v205, 0x3f2c7751, v137
	v_add_f32_e32 v7, v139, v7
	v_fmamk_f32 v139, v92, 0x3ee437d1, v145
	v_fma_f32 v137, 0x3f3d2fb0, v102, -v200
	v_mul_f32_e32 v201, 0xbf763a35, v169
	s_delay_alu instid0(VALU_DEP_3) | instskip(SKIP_1) | instid1(VALU_DEP_1)
	v_add_f32_e32 v7, v139, v7
	v_dual_fmamk_f32 v139, v97, 0xbf7ba420, v144 :: v_dual_add_f32 v4, v142, v4
	v_dual_mul_f32 v142, 0x3f7ee86f, v158 :: v_dual_add_f32 v7, v139, v7
	s_delay_alu instid0(VALU_DEP_2) | instskip(NEXT) | instid1(VALU_DEP_2)
	v_add_f32_e32 v4, v143, v4
	v_fmamk_f32 v139, v99, 0x3dbcf732, v142
	v_mul_f32_e32 v143, 0xbeb8f4ab, v161
	s_delay_alu instid0(VALU_DEP_2) | instskip(NEXT) | instid1(VALU_DEP_2)
	v_add_f32_e32 v7, v139, v7
	v_dual_fmamk_f32 v151, v101, 0x3f6eb680, v143 :: v_dual_add_f32 v4, v147, v4
	v_mul_f32_e32 v139, 0xbf4c4adb, v170
	v_fma_f32 v147, 0xbf7ba420, v98, -v152
	s_delay_alu instid0(VALU_DEP_3) | instskip(SKIP_1) | instid1(VALU_DEP_3)
	v_add_f32_e32 v151, v151, v7
	v_add_f32_e32 v7, v10, v5
	v_dual_fmamk_f32 v163, v110, 0xbf1a4643, v139 :: v_dual_add_f32 v4, v147, v4
	v_mul_f32_e32 v147, 0xbeb8f4ab, v160
	s_delay_alu instid0(VALU_DEP_2) | instskip(NEXT) | instid1(VALU_DEP_3)
	v_add_f32_e32 v5, v159, v4
	v_add_f32_e32 v4, v163, v151
	v_fma_f32 v163, 0xbf1a4643, v87, -v171
	s_delay_alu instid0(VALU_DEP_4) | instskip(NEXT) | instid1(VALU_DEP_2)
	v_fma_f32 v10, 0x3f6eb680, v102, -v147
	v_add_f32_e32 v163, v163, v17
	s_delay_alu instid0(VALU_DEP_2) | instskip(NEXT) | instid1(VALU_DEP_2)
	v_add_f32_e32 v5, v10, v5
	v_add_f32_e32 v163, v167, v163
	v_mul_f32_e32 v165, 0xbeb8f4ab, v70
	s_delay_alu instid0(VALU_DEP_2) | instskip(SKIP_2) | instid1(VALU_DEP_4)
	v_dual_mul_f32 v167, 0x3f7ee86f, v149 :: v_dual_add_f32 v176, v175, v163
	v_mul_f32_e32 v175, 0x3f7ee86f, v148
	v_mul_f32_e32 v163, 0xbf2c7751, v158
	v_fmamk_f32 v168, v82, 0x3f6eb680, v165
	s_delay_alu instid0(VALU_DEP_4) | instskip(NEXT) | instid1(VALU_DEP_4)
	v_add_f32_e32 v176, v177, v176
	v_fma_f32 v177, 0x3dbcf732, v98, -v175
	s_delay_alu instid0(VALU_DEP_1) | instskip(SKIP_4) | instid1(VALU_DEP_4)
	v_add_f32_e32 v178, v177, v176
	v_mul_f32_e32 v176, 0xbf2c7751, v157
	v_mul_f32_e32 v177, 0xbe3c28d5, v160
	;; [unrolled: 1-line block ×4, first 2 shown]
	v_fma_f32 v179, 0x3f3d2fb0, v100, -v176
	s_delay_alu instid0(VALU_DEP_4) | instskip(NEXT) | instid1(VALU_DEP_2)
	v_fma_f32 v185, 0xbf7ba420, v102, -v177
	v_add_f32_e32 v178, v179, v178
	v_mul_f32_e32 v179, 0x3f4c4adb, v138
	v_fmamk_f32 v10, v85, 0xbf1a4643, v162
	s_delay_alu instid0(VALU_DEP_2) | instskip(NEXT) | instid1(VALU_DEP_2)
	v_dual_add_f32 v206, v185, v178 :: v_dual_fmamk_f32 v185, v92, 0xbf1a4643, v179
	v_dual_mul_f32 v151, 0xbf4c4adb, v169 :: v_dual_add_f32 v10, v10, v16
	v_mul_f32_e32 v178, 0x3f65296c, v169
	v_mul_f32_e32 v169, 0x3f7ee86f, v169
	s_delay_alu instid0(VALU_DEP_3) | instskip(NEXT) | instid1(VALU_DEP_4)
	v_fma_f32 v159, 0xbf1a4643, v111, -v151
	v_add_f32_e32 v10, v166, v10
	v_mul_f32_e32 v166, 0xbf06c442, v138
	v_fma_f32 v207, 0x3ee437d1, v111, -v178
	s_delay_alu instid0(VALU_DEP_3) | instskip(SKIP_1) | instid1(VALU_DEP_4)
	v_dual_add_f32 v5, v159, v5 :: v_dual_add_f32 v10, v168, v10
	v_fmamk_f32 v159, v99, 0x3f3d2fb0, v163
	v_fmamk_f32 v168, v92, 0xbf59a7d5, v166
	s_delay_alu instid0(VALU_DEP_1) | instskip(SKIP_1) | instid1(VALU_DEP_1)
	v_add_f32_e32 v10, v168, v10
	v_fmamk_f32 v168, v97, 0x3dbcf732, v167
	v_add_f32_e32 v10, v168, v10
	v_mul_f32_e32 v168, 0xbe3c28d5, v161
	s_delay_alu instid0(VALU_DEP_2) | instskip(NEXT) | instid1(VALU_DEP_2)
	v_dual_add_f32 v10, v159, v10 :: v_dual_fmamk_f32 v159, v85, 0xbf59a7d5, v181
	v_fmamk_f32 v183, v101, 0xbf7ba420, v168
	s_delay_alu instid0(VALU_DEP_2) | instskip(NEXT) | instid1(VALU_DEP_1)
	v_add_f32_e32 v159, v159, v16
	v_dual_add_f32 v10, v183, v10 :: v_dual_add_f32 v183, v184, v159
	v_mul_f32_e32 v159, 0x3f65296c, v170
	v_fmamk_f32 v184, v82, 0x3dbcf732, v180
	s_delay_alu instid0(VALU_DEP_2) | instskip(NEXT) | instid1(VALU_DEP_2)
	v_fmamk_f32 v189, v110, 0x3ee437d1, v159
	v_dual_add_f32 v183, v184, v183 :: v_dual_mul_f32 v184, 0xbeb8f4ab, v149
	s_delay_alu instid0(VALU_DEP_1) | instskip(NEXT) | instid1(VALU_DEP_2)
	v_add_f32_e32 v185, v185, v183
	v_fmamk_f32 v187, v97, 0x3f6eb680, v184
	v_mul_f32_e32 v183, 0xbe3c28d5, v158
	s_delay_alu instid0(VALU_DEP_2) | instskip(NEXT) | instid1(VALU_DEP_2)
	v_dual_mul_f32 v158, 0x3f65296c, v158 :: v_dual_add_f32 v187, v187, v185
	v_fmamk_f32 v190, v99, 0xbf7ba420, v183
	v_mul_f32_e32 v185, 0x3f2c7751, v161
	v_mul_f32_e32 v161, 0xbf763a35, v161
	s_delay_alu instid0(VALU_DEP_3) | instskip(NEXT) | instid1(VALU_DEP_3)
	v_add_f32_e32 v187, v190, v187
	v_fmamk_f32 v191, v101, 0x3f3d2fb0, v185
	v_fma_f32 v190, 0xbf1a4643, v93, -v193
	v_add_f32_e32 v10, v189, v10
	v_fma_f32 v189, 0x3f6eb680, v98, -v192
	s_delay_alu instid0(VALU_DEP_4) | instskip(SKIP_1) | instid1(VALU_DEP_1)
	v_dual_add_f32 v208, v191, v187 :: v_dual_mul_f32 v187, 0xbe3c28d5, v9
	v_add_f32_e32 v186, v186, v17
	v_add_f32_e32 v186, v188, v186
	v_fma_f32 v188, 0x3dbcf732, v84, -v194
	s_delay_alu instid0(VALU_DEP_1) | instskip(SKIP_1) | instid1(VALU_DEP_1)
	v_add_f32_e32 v188, v188, v186
	v_mul_f32_e32 v186, 0xbf763a35, v170
	v_fmamk_f32 v9, v110, 0xbe8c1d8e, v186
	s_delay_alu instid0(VALU_DEP_3) | instskip(NEXT) | instid1(VALU_DEP_1)
	v_add_f32_e32 v188, v190, v188
	v_add_f32_e32 v8, v189, v188
	v_fmamk_f32 v189, v85, 0xbf7ba420, v187
	v_mul_f32_e32 v188, 0x3eb8f4ab, v14
	v_fma_f32 v14, 0xbf7ba420, v87, -v202
	s_delay_alu instid0(VALU_DEP_4) | instskip(NEXT) | instid1(VALU_DEP_4)
	v_add_f32_e32 v8, v11, v8
	v_add_f32_e32 v190, v189, v16
	s_delay_alu instid0(VALU_DEP_4) | instskip(SKIP_2) | instid1(VALU_DEP_3)
	v_fmamk_f32 v191, v77, 0x3f6eb680, v188
	v_mul_f32_e32 v189, 0xbf06c442, v70
	v_fma_f32 v70, 0xbf59a7d5, v84, -v204
	v_add_f32_e32 v11, v191, v190
	v_mul_f32_e32 v191, 0xbf4c4adb, v149
	s_delay_alu instid0(VALU_DEP_4) | instskip(SKIP_2) | instid1(VALU_DEP_3)
	v_fmamk_f32 v15, v82, 0xbf59a7d5, v189
	v_mul_f32_e32 v190, 0x3f2c7751, v138
	v_add_f32_e32 v14, v14, v17
	v_dual_fmamk_f32 v138, v110, 0x3dbcf732, v157 :: v_dual_add_f32 v11, v15, v11
	s_delay_alu instid0(VALU_DEP_2) | instskip(SKIP_2) | instid1(VALU_DEP_3)
	v_dual_fmamk_f32 v15, v92, 0x3f3d2fb0, v190 :: v_dual_add_f32 v14, v198, v14
	v_mul_f32_e32 v198, 0xbf4c4adb, v148
	v_fma_f32 v148, 0x3dbcf732, v111, -v169
	v_dual_add_f32 v11, v15, v11 :: v_dual_add_f32 v14, v70, v14
	v_fma_f32 v70, 0x3f3d2fb0, v93, -v205
	v_fmamk_f32 v15, v97, 0xbf1a4643, v191
	s_delay_alu instid0(VALU_DEP_2) | instskip(SKIP_1) | instid1(VALU_DEP_3)
	v_dual_add_f32 v137, v137, v8 :: v_dual_add_f32 v14, v70, v14
	v_fma_f32 v70, 0xbf1a4643, v98, -v198
	v_add_f32_e32 v8, v15, v11
	v_fma_f32 v15, 0x3ee437d1, v100, -v199
	s_delay_alu instid0(VALU_DEP_3) | instskip(SKIP_1) | instid1(VALU_DEP_2)
	v_dual_add_f32 v11, v70, v14 :: v_dual_fmamk_f32 v14, v99, 0x3ee437d1, v158
	v_fma_f32 v70, 0xbe8c1d8e, v111, -v201
	v_dual_add_f32 v11, v15, v11 :: v_dual_add_f32 v8, v14, v8
	v_fmamk_f32 v14, v101, 0xbe8c1d8e, v161
	v_fma_f32 v15, 0xbe8c1d8e, v102, -v160
	s_delay_alu instid0(VALU_DEP_1) | instskip(SKIP_2) | instid1(VALU_DEP_3)
	v_dual_add_f32 v14, v14, v8 :: v_dual_add_f32 v15, v15, v11
	v_dual_add_f32 v11, v207, v206 :: v_dual_add_f32 v8, v9, v208
	v_add_f32_e32 v9, v70, v137
	v_dual_add_f32 v14, v138, v14 :: v_dual_add_f32 v15, v148, v15
	v_mul_lo_u16 v70, v68, 17
	s_and_saveexec_b32 s0, vcc_lo
	s_cbranch_execz .LBB0_7
; %bb.6:
	v_dual_mul_f32 v170, 0xbf7ba420, v87 :: v_dual_mul_f32 v215, 0xbf7ba420, v85
	v_dual_mul_f32 v137, 0x3f6eb680, v85 :: v_dual_mul_f32 v138, 0x3f6eb680, v87
	;; [unrolled: 1-line block ×3, first 2 shown]
	s_delay_alu instid0(VALU_DEP_3) | instskip(SKIP_2) | instid1(VALU_DEP_3)
	v_dual_add_f32 v170, v202, v170 :: v_dual_mul_f32 v211, 0xbe8c1d8e, v87
	v_mul_f32_e32 v202, 0x3f6eb680, v79
	v_dual_mul_f32 v206, 0x3ee437d1, v85 :: v_dual_mul_f32 v207, 0x3ee437d1, v87
	v_dual_add_f32 v170, v170, v17 :: v_dual_mul_f32 v213, 0xbf1a4643, v87
	s_delay_alu instid0(VALU_DEP_3) | instskip(SKIP_2) | instid1(VALU_DEP_3)
	v_dual_add_f32 v202, v203, v202 :: v_dual_mul_f32 v203, 0xbf59a7d5, v84
	v_dual_mul_f32 v208, 0x3dbcf732, v85 :: v_dual_mul_f32 v209, 0x3dbcf732, v87
	v_add_f32_e32 v18, v18, v16
	v_add_f32_e32 v170, v202, v170
	s_delay_alu instid0(VALU_DEP_4) | instskip(SKIP_1) | instid1(VALU_DEP_4)
	v_add_f32_e32 v202, v204, v203
	v_mul_f32_e32 v204, 0xbf59a7d5, v87
	v_dual_mul_f32 v203, 0x3f3d2fb0, v93 :: v_dual_add_f32 v18, v44, v18
	v_dual_add_f32 v60, v60, v149 :: v_dual_mul_f32 v87, 0x3f3d2fb0, v79
	s_delay_alu instid0(VALU_DEP_3) | instskip(NEXT) | instid1(VALU_DEP_3)
	v_dual_add_f32 v197, v197, v204 :: v_dual_mul_f32 v204, 0x3ee437d1, v79
	v_dual_add_f32 v18, v46, v18 :: v_dual_sub_f32 v187, v215, v187
	v_mul_f32_e32 v215, 0xbe8c1d8e, v92
	s_delay_alu instid0(VALU_DEP_3) | instskip(NEXT) | instid1(VALU_DEP_4)
	v_add_f32_e32 v197, v197, v17
	v_dual_mul_f32 v210, 0xbe8c1d8e, v85 :: v_dual_add_f32 v195, v195, v204
	v_mul_f32_e32 v204, 0x3dbcf732, v84
	v_dual_add_f32 v40, v40, v18 :: v_dual_add_f32 v187, v187, v16
	s_delay_alu instid0(VALU_DEP_3) | instskip(NEXT) | instid1(VALU_DEP_3)
	v_dual_sub_f32 v140, v210, v140 :: v_dual_add_f32 v195, v195, v197
	v_dual_mul_f32 v197, 0x3dbcf732, v82 :: v_dual_add_f32 v194, v194, v204
	v_sub_f32_e32 v103, v206, v103
	v_sub_f32_e32 v59, v148, v59
	s_delay_alu instid0(VALU_DEP_3) | instskip(NEXT) | instid1(VALU_DEP_4)
	v_dual_add_f32 v19, v19, v17 :: v_dual_sub_f32 v180, v197, v180
	v_dual_add_f32 v194, v194, v195 :: v_dual_mul_f32 v195, 0xbf1a4643, v92
	v_mul_f32_e32 v214, 0xbf59a7d5, v85
	v_mul_f32_e32 v197, 0xbf7ba420, v77
	v_add_f32_e32 v103, v103, v16
	v_add_f32_e32 v59, v59, v16
	v_sub_f32_e32 v179, v195, v179
	v_sub_f32_e32 v181, v214, v181
	v_mul_f32_e32 v212, 0xbf1a4643, v85
	v_dual_mul_f32 v85, 0x3f3d2fb0, v77 :: v_dual_add_f32 v170, v202, v170
	v_dual_add_f32 v202, v205, v203 :: v_dual_mul_f32 v203, 0x3dbcf732, v77
	s_delay_alu instid0(VALU_DEP_4) | instskip(SKIP_2) | instid1(VALU_DEP_4)
	v_add_f32_e32 v181, v181, v16
	v_mul_f32_e32 v195, 0xbf59a7d5, v77
	v_mul_f32_e32 v214, 0xbe8c1d8e, v77
	v_dual_add_f32 v170, v202, v170 :: v_dual_mul_f32 v205, 0x3dbcf732, v79
	v_mul_f32_e32 v202, 0x3ee437d1, v77
	s_delay_alu instid0(VALU_DEP_4) | instskip(SKIP_1) | instid1(VALU_DEP_4)
	v_sub_f32_e32 v141, v195, v141
	v_sub_f32_e32 v83, v203, v83
	v_dual_add_f32 v19, v45, v19 :: v_dual_add_f32 v94, v94, v205
	s_delay_alu instid0(VALU_DEP_4) | instskip(SKIP_1) | instid1(VALU_DEP_4)
	v_sub_f32_e32 v182, v202, v182
	v_mul_f32_e32 v204, 0xbf1a4643, v79
	v_add_f32_e32 v59, v83, v59
	s_delay_alu instid0(VALU_DEP_4) | instskip(NEXT) | instid1(VALU_DEP_4)
	v_add_f32_e32 v19, v47, v19
	v_add_f32_e32 v181, v182, v181
	s_delay_alu instid0(VALU_DEP_1) | instskip(SKIP_1) | instid1(VALU_DEP_2)
	v_dual_add_f32 v19, v41, v19 :: v_dual_add_f32 v180, v180, v181
	v_mul_f32_e32 v181, 0x3f6eb680, v98
	v_add_f32_e32 v19, v43, v19
	v_sub_f32_e32 v43, v137, v51
	s_delay_alu instid0(VALU_DEP_4) | instskip(NEXT) | instid1(VALU_DEP_4)
	v_dual_add_f32 v179, v179, v180 :: v_dual_mul_f32 v182, 0xbf1a4643, v93
	v_add_f32_e32 v181, v192, v181
	s_delay_alu instid0(VALU_DEP_4) | instskip(NEXT) | instid1(VALU_DEP_3)
	v_add_f32_e32 v19, v37, v19
	v_dual_add_f32 v37, v54, v87 :: v_dual_add_f32 v182, v193, v182
	v_mul_f32_e32 v193, 0xbf7ba420, v79
	s_delay_alu instid0(VALU_DEP_2) | instskip(SKIP_2) | instid1(VALU_DEP_3)
	v_dual_add_f32 v19, v39, v19 :: v_dual_add_f32 v182, v182, v194
	v_mul_f32_e32 v202, 0xbf1a4643, v77
	v_mul_f32_e32 v77, 0x3f6eb680, v77
	v_add_f32_e32 v19, v25, v19
	s_delay_alu instid0(VALU_DEP_4) | instskip(NEXT) | instid1(VALU_DEP_3)
	v_dual_add_f32 v181, v181, v182 :: v_dual_mul_f32 v182, 0xbf7ba420, v99
	v_dual_sub_f32 v77, v77, v188 :: v_dual_mul_f32 v188, 0xbe8c1d8e, v102
	v_sub_f32_e32 v105, v202, v105
	s_delay_alu instid0(VALU_DEP_4) | instskip(NEXT) | instid1(VALU_DEP_4)
	v_add_f32_e32 v19, v27, v19
	v_sub_f32_e32 v182, v182, v183
	s_delay_alu instid0(VALU_DEP_4) | instskip(SKIP_2) | instid1(VALU_DEP_3)
	v_dual_mul_f32 v194, 0x3f6eb680, v97 :: v_dual_add_f32 v77, v77, v187
	v_mul_f32_e32 v187, 0x3dbcf732, v111
	v_mul_f32_e32 v183, 0x3ee437d1, v84
	v_dual_add_f32 v19, v21, v19 :: v_dual_sub_f32 v180, v194, v184
	v_mul_f32_e32 v184, 0xbf7ba420, v100
	s_delay_alu instid0(VALU_DEP_4) | instskip(SKIP_1) | instid1(VALU_DEP_4)
	v_dual_mul_f32 v194, 0x3ee437d1, v82 :: v_dual_add_f32 v169, v169, v187
	v_mul_f32_e32 v187, 0x3f3d2fb0, v92
	v_add_f32_e32 v179, v180, v179
	s_delay_alu instid0(VALU_DEP_4)
	v_add_f32_e32 v184, v196, v184
	v_mul_f32_e32 v192, 0xbf59a7d5, v79
	v_mul_f32_e32 v196, 0xbf1a4643, v82
	;; [unrolled: 1-line block ×3, first 2 shown]
	v_sub_f32_e32 v187, v187, v190
	v_add_f32_e32 v181, v184, v181
	v_mul_f32_e32 v184, 0x3f3d2fb0, v101
	s_delay_alu instid0(VALU_DEP_4) | instskip(SKIP_2) | instid1(VALU_DEP_4)
	v_dual_mul_f32 v190, 0xbf1a4643, v97 :: v_dual_add_f32 v79, v172, v79
	v_add_f32_e32 v156, v156, v192
	v_mul_f32_e32 v192, 0x3ee437d1, v101
	v_dual_sub_f32 v184, v184, v185 :: v_dual_mul_f32 v185, 0xbf1a4643, v84
	v_add_f32_e32 v179, v182, v179
	v_mul_f32_e32 v182, 0xbe8c1d8e, v111
	v_dual_sub_f32 v190, v190, v191 :: v_dual_mul_f32 v191, 0x3ee437d1, v92
	s_delay_alu instid0(VALU_DEP_4) | instskip(NEXT) | instid1(VALU_DEP_3)
	v_dual_sub_f32 v83, v196, v86 :: v_dual_add_f32 v90, v90, v185
	v_add_f32_e32 v182, v201, v182
	v_mul_f32_e32 v201, 0x3f6eb680, v82
	v_dual_mul_f32 v180, 0x3f3d2fb0, v102 :: v_dual_add_f32 v179, v184, v179
	v_dual_mul_f32 v184, 0xbf7ba420, v82 :: v_dual_sub_f32 v145, v191, v145
	s_delay_alu instid0(VALU_DEP_2) | instskip(SKIP_2) | instid1(VALU_DEP_3)
	v_dual_sub_f32 v165, v201, v165 :: v_dual_add_f32 v180, v200, v180
	v_dual_mul_f32 v200, 0xbf1a4643, v98 :: v_dual_mul_f32 v201, 0xbf1a4643, v100
	v_dual_mul_f32 v191, 0xbf1a4643, v110 :: v_dual_add_f32 v40, v42, v40
	v_dual_add_f32 v180, v180, v181 :: v_dual_mul_f32 v181, 0xbe8c1d8e, v110
	s_delay_alu instid0(VALU_DEP_3) | instskip(NEXT) | instid1(VALU_DEP_3)
	v_dual_add_f32 v198, v198, v200 :: v_dual_add_f32 v59, v83, v59
	v_dual_add_f32 v36, v36, v40 :: v_dual_sub_f32 v25, v194, v55
	s_delay_alu instid0(VALU_DEP_3) | instskip(NEXT) | instid1(VALU_DEP_3)
	v_sub_f32_e32 v181, v181, v186
	v_add_f32_e32 v170, v198, v170
	v_mul_f32_e32 v198, 0x3f3d2fb0, v82
	v_mul_f32_e32 v186, 0xbf7ba420, v84
	;; [unrolled: 1-line block ×3, first 2 shown]
	v_add_f32_e32 v179, v181, v179
	v_mul_f32_e32 v181, 0xbe8c1d8e, v82
	v_mul_f32_e32 v82, 0xbf59a7d5, v82
	v_dual_add_f32 v36, v38, v36 :: v_dual_add_f32 v19, v23, v19
	s_delay_alu instid0(VALU_DEP_2) | instskip(SKIP_2) | instid1(VALU_DEP_4)
	v_sub_f32_e32 v82, v82, v189
	v_mul_f32_e32 v200, 0x3ee437d1, v100
	v_mul_f32_e32 v189, 0xbf7ba420, v92
	v_dual_add_f32 v24, v24, v36 :: v_dual_add_f32 v19, v29, v19
	s_delay_alu instid0(VALU_DEP_4) | instskip(NEXT) | instid1(VALU_DEP_4)
	v_add_f32_e32 v77, v82, v77
	v_add_f32_e32 v199, v199, v200
	v_mul_f32_e32 v200, 0x3f3d2fb0, v84
	v_add_f32_e32 v82, v171, v213
	v_mul_f32_e32 v213, 0x3f3d2fb0, v97
	v_add_f32_e32 v77, v187, v77
	v_dual_add_f32 v170, v199, v170 :: v_dual_mul_f32 v199, 0x3dbcf732, v92
	v_dual_add_f32 v180, v182, v180 :: v_dual_mul_f32 v171, 0xbe8c1d8e, v93
	v_mul_f32_e32 v182, 0xbe8c1d8e, v84
	v_dual_mul_f32 v84, 0x3f6eb680, v84 :: v_dual_mul_f32 v187, 0x3f6eb680, v93
	v_add_f32_e32 v77, v190, v77
	v_sub_f32_e32 v83, v189, v88
	s_delay_alu instid0(VALU_DEP_3) | instskip(SKIP_1) | instid1(VALU_DEP_3)
	v_dual_add_f32 v19, v31, v19 :: v_dual_add_f32 v84, v173, v84
	v_mul_f32_e32 v173, 0x3ee437d1, v99
	v_add_f32_e32 v59, v83, v59
	s_delay_alu instid0(VALU_DEP_3) | instskip(NEXT) | instid1(VALU_DEP_3)
	v_add_f32_e32 v19, v33, v19
	v_sub_f32_e32 v158, v173, v158
	v_dual_mul_f32 v173, 0xbe8c1d8e, v98 :: v_dual_add_f32 v82, v82, v17
	s_delay_alu instid0(VALU_DEP_3) | instskip(NEXT) | instid1(VALU_DEP_3)
	v_dual_add_f32 v160, v160, v188 :: v_dual_add_f32 v23, v35, v19
	v_dual_add_f32 v77, v158, v77 :: v_dual_mul_f32 v158, 0x3dbcf732, v98
	s_delay_alu instid0(VALU_DEP_3) | instskip(NEXT) | instid1(VALU_DEP_3)
	v_add_f32_e32 v79, v79, v82
	v_add_f32_e32 v160, v160, v170
	v_mul_f32_e32 v188, 0x3dbcf732, v93
	v_mul_f32_e32 v82, 0x3ee437d1, v93
	v_add_f32_e32 v21, v62, v173
	v_dual_add_f32 v79, v84, v79 :: v_dual_mul_f32 v170, 0xbf7ba420, v93
	v_mul_f32_e32 v93, 0xbf59a7d5, v93
	v_mul_f32_e32 v172, 0x3f6eb680, v92
	v_dual_add_f32 v36, v58, v188 :: v_dual_add_f32 v13, v13, v23
	s_delay_alu instid0(VALU_DEP_3) | instskip(NEXT) | instid1(VALU_DEP_1)
	v_add_f32_e32 v93, v174, v93
	v_add_f32_e32 v79, v93, v79
	v_dual_add_f32 v93, v175, v158 :: v_dual_mul_f32 v92, 0xbf59a7d5, v92
	v_mul_f32_e32 v158, 0x3f3d2fb0, v98
	v_mul_f32_e32 v175, 0x3ee437d1, v97
	v_add_f32_e32 v91, v91, v170
	s_delay_alu instid0(VALU_DEP_4) | instskip(SKIP_3) | instid1(VALU_DEP_3)
	v_add_f32_e32 v79, v93, v79
	v_mul_f32_e32 v93, 0x3f3d2fb0, v100
	v_sub_f32_e32 v164, v214, v164
	v_sub_f32_e32 v92, v92, v166
	v_add_f32_e32 v93, v176, v93
	v_mul_f32_e32 v84, 0xbe8c1d8e, v101
	v_mul_f32_e32 v176, 0xbf1a4643, v99
	s_delay_alu instid0(VALU_DEP_2) | instskip(NEXT) | instid1(VALU_DEP_1)
	v_dual_add_f32 v79, v93, v79 :: v_dual_sub_f32 v84, v84, v161
	v_dual_mul_f32 v161, 0xbf59a7d5, v98 :: v_dual_add_f32 v84, v84, v77
	v_dual_sub_f32 v77, v212, v162 :: v_dual_mul_f32 v190, 0xbe8c1d8e, v97
	v_add_f32_e32 v82, v153, v82
	s_delay_alu instid0(VALU_DEP_2) | instskip(NEXT) | instid1(VALU_DEP_1)
	v_dual_add_f32 v77, v77, v16 :: v_dual_mul_f32 v162, 0x3ee437d1, v98
	v_dual_add_f32 v77, v164, v77 :: v_dual_mul_f32 v98, 0xbf7ba420, v98
	s_delay_alu instid0(VALU_DEP_1) | instskip(NEXT) | instid1(VALU_DEP_2)
	v_dual_add_f32 v77, v165, v77 :: v_dual_mul_f32 v164, 0xbf7ba420, v102
	v_dual_mul_f32 v165, 0xbe8c1d8e, v100 :: v_dual_add_f32 v98, v152, v98
	s_delay_alu instid0(VALU_DEP_2) | instskip(NEXT) | instid1(VALU_DEP_3)
	v_add_f32_e32 v77, v92, v77
	v_dual_mul_f32 v174, 0xbf59a7d5, v97 :: v_dual_add_f32 v93, v177, v164
	v_mul_f32_e32 v212, 0xbf7ba420, v97
	v_mul_f32_e32 v97, 0x3dbcf732, v97
	;; [unrolled: 1-line block ×3, first 2 shown]
	s_delay_alu instid0(VALU_DEP_4) | instskip(SKIP_4) | instid1(VALU_DEP_3)
	v_sub_f32_e32 v83, v174, v89
	v_add_f32_e32 v79, v93, v79
	v_mul_f32_e32 v93, 0x3ee437d1, v111
	v_dual_sub_f32 v92, v97, v167 :: v_dual_mul_f32 v97, 0xbf59a7d5, v100
	v_mul_f32_e32 v164, 0x3dbcf732, v110
	v_dual_mul_f32 v166, 0x3f6eb680, v99 :: v_dual_add_f32 v93, v178, v93
	s_delay_alu instid0(VALU_DEP_3) | instskip(NEXT) | instid1(VALU_DEP_3)
	v_dual_add_f32 v77, v92, v77 :: v_dual_mul_f32 v214, 0xbe8c1d8e, v99
	v_sub_f32_e32 v157, v164, v157
	v_mul_f32_e32 v167, 0x3dbcf732, v99
	v_mul_f32_e32 v99, 0x3f3d2fb0, v99
	v_add_f32_e32 v92, v154, v211
	v_mul_f32_e32 v164, 0x3f6eb680, v100
	v_mul_f32_e32 v178, 0xbf59a7d5, v101
	s_delay_alu instid0(VALU_DEP_4)
	v_dual_mul_f32 v100, 0x3dbcf732, v100 :: v_dual_sub_f32 v99, v99, v163
	v_mul_f32_e32 v163, 0xbf7ba420, v101
	v_add_f32_e32 v92, v92, v17
	v_mul_f32_e32 v154, 0xbf59a7d5, v102
	v_mul_f32_e32 v211, 0x3ee437d1, v102
	v_add_f32_e32 v99, v99, v77
	v_dual_sub_f32 v163, v163, v168 :: v_dual_mul_f32 v168, 0x3dbcf732, v101
	v_dual_add_f32 v77, v156, v92 :: v_dual_mul_f32 v156, 0x3dbcf732, v102
	v_dual_add_f32 v92, v155, v200 :: v_dual_mul_f32 v155, 0xbf1a4643, v101
	v_mul_f32_e32 v101, 0x3f6eb680, v101
	v_dual_mul_f32 v195, 0xbf7ba420, v110 :: v_dual_add_f32 v140, v140, v16
	s_delay_alu instid0(VALU_DEP_3) | instskip(SKIP_2) | instid1(VALU_DEP_4)
	v_dual_mul_f32 v200, 0xbf1a4643, v102 :: v_dual_add_f32 v77, v92, v77
	v_mul_f32_e32 v153, 0x3f6eb680, v110
	v_mul_f32_e32 v102, 0x3f6eb680, v102
	v_dual_add_f32 v92, v141, v140 :: v_dual_sub_f32 v141, v198, v146
	v_mul_f32_e32 v140, 0x3f6eb680, v111
	v_dual_mul_f32 v146, 0xbf59a7d5, v110 :: v_dual_add_f32 v79, v93, v79
	v_dual_mul_f32 v198, 0xbf59a7d5, v111 :: v_dual_add_f32 v93, v150, v100
	s_delay_alu instid0(VALU_DEP_4) | instskip(SKIP_3) | instid1(VALU_DEP_3)
	v_dual_add_f32 v92, v141, v92 :: v_dual_mul_f32 v141, 0x3f3d2fb0, v111
	v_dual_add_f32 v82, v82, v77 :: v_dual_mul_f32 v111, 0xbf1a4643, v111
	v_dual_mul_f32 v152, 0x3f3d2fb0, v110 :: v_dual_add_f32 v99, v163, v99
	v_mul_f32_e32 v110, 0x3ee437d1, v110
	v_add_f32_e32 v82, v98, v82
	v_add_f32_e32 v97, v130, v97
	;; [unrolled: 1-line block ×3, first 2 shown]
	v_sub_f32_e32 v88, v146, v108
	v_sub_f32_e32 v44, v214, v75
	v_add_f32_e32 v82, v93, v82
	v_dual_add_f32 v93, v147, v102 :: v_dual_add_f32 v92, v145, v92
	v_dual_add_f32 v102, v134, v193 :: v_dual_add_f32 v75, v81, v140
	v_add_f32_e32 v80, v80, v211
	s_delay_alu instid0(VALU_DEP_3) | instskip(SKIP_3) | instid1(VALU_DEP_4)
	v_dual_add_f32 v82, v93, v82 :: v_dual_add_f32 v93, v151, v111
	v_add_f32_e32 v111, v116, v207
	v_sub_f32_e32 v98, v212, v144
	v_dual_add_f32 v116, v117, v204 :: v_dual_add_f32 v59, v83, v59
	v_add_f32_e32 v93, v93, v82
	s_delay_alu instid0(VALU_DEP_4)
	v_add_f32_e32 v111, v111, v17
	v_add_f32_e32 v100, v133, v209
	;; [unrolled: 1-line block ×3, first 2 shown]
	v_sub_f32_e32 v98, v167, v142
	v_add_f32_e32 v44, v44, v59
	v_sub_f32_e32 v46, v192, v76
	v_add_f32_e32 v100, v100, v17
	;; [unrolled: 2-line block ×3, first 2 shown]
	v_dual_sub_f32 v98, v101, v143 :: v_dual_add_f32 v101, v136, v182
	s_delay_alu instid0(VALU_DEP_4) | instskip(SKIP_2) | instid1(VALU_DEP_4)
	v_add_f32_e32 v100, v102, v100
	v_sub_f32_e32 v102, v110, v159
	v_sub_f32_e32 v110, v208, v123
	v_add_f32_e32 v82, v98, v92
	v_add_f32_e32 v98, v132, v187
	;; [unrolled: 1-line block ×3, first 2 shown]
	s_delay_alu instid0(VALU_DEP_4) | instskip(SKIP_1) | instid1(VALU_DEP_3)
	v_dual_sub_f32 v101, v197, v126 :: v_dual_add_f32 v100, v110, v16
	v_dual_sub_f32 v110, v191, v139 :: v_dual_add_f32 v41, v46, v44
	v_add_f32_e32 v92, v98, v92
	v_add_f32_e32 v98, v129, v162
	s_delay_alu instid0(VALU_DEP_4) | instskip(SKIP_2) | instid1(VALU_DEP_4)
	v_add_f32_e32 v100, v101, v100
	v_dual_sub_f32 v101, v181, v121 :: v_dual_add_f32 v44, v52, v138
	v_add_f32_e32 v16, v43, v16
	v_add_f32_e32 v92, v98, v92
	v_sub_f32_e32 v40, v85, v53
	s_delay_alu instid0(VALU_DEP_4)
	v_add_f32_e32 v98, v101, v100
	v_sub_f32_e32 v100, v172, v122
	v_add_f32_e32 v101, v116, v111
	v_add_f32_e32 v111, v118, v186
	v_add_f32_e32 v97, v97, v92
	v_add_f32_e32 v116, v131, v200
	v_add_f32_e32 v98, v100, v98
	v_sub_f32_e32 v100, v175, v124
	v_add_f32_e32 v101, v111, v101
	v_dual_add_f32 v111, v119, v171 :: v_dual_add_f32 v92, v110, v82
	v_add_f32_e32 v82, v116, v97
	s_delay_alu instid0(VALU_DEP_4) | instskip(NEXT) | instid1(VALU_DEP_3)
	v_dual_add_f32 v97, v100, v98 :: v_dual_sub_f32 v98, v177, v127
	v_dual_add_f32 v100, v111, v101 :: v_dual_add_f32 v101, v120, v158
	v_add_f32_e32 v110, v135, v141
	v_add_f32_e32 v78, v102, v99
	s_delay_alu instid0(VALU_DEP_4) | instskip(SKIP_4) | instid1(VALU_DEP_4)
	v_add_f32_e32 v97, v98, v97
	v_sub_f32_e32 v98, v155, v125
	v_add_f32_e32 v100, v101, v100
	v_add_f32_e32 v101, v114, v164
	;; [unrolled: 1-line block ×3, first 2 shown]
	v_dual_add_f32 v76, v157, v84 :: v_dual_add_f32 v97, v98, v97
	s_delay_alu instid0(VALU_DEP_3) | instskip(SKIP_3) | instid1(VALU_DEP_2)
	v_add_f32_e32 v98, v101, v100
	v_add_f32_e32 v101, v105, v103
	v_sub_f32_e32 v103, v184, v112
	v_sub_f32_e32 v105, v152, v128
	v_add_f32_e32 v101, v103, v101
	v_sub_f32_e32 v103, v215, v109
	v_add_f32_e32 v109, v60, v17
	v_add_f32_e32 v17, v44, v17
	;; [unrolled: 1-line block ×3, first 2 shown]
	s_delay_alu instid0(VALU_DEP_3) | instskip(NEXT) | instid1(VALU_DEP_3)
	v_add_f32_e32 v94, v94, v109
	v_add_f32_e32 v17, v37, v17
	s_delay_alu instid0(VALU_DEP_2) | instskip(NEXT) | instid1(VALU_DEP_1)
	v_dual_add_f32 v37, v56, v183 :: v_dual_add_f32 v90, v90, v94
	v_dual_sub_f32 v94, v168, v107 :: v_dual_add_f32 v17, v37, v17
	s_delay_alu instid0(VALU_DEP_2) | instskip(SKIP_1) | instid1(VALU_DEP_1)
	v_add_f32_e32 v90, v91, v90
	v_add_f32_e32 v91, v95, v161
	v_dual_add_f32 v17, v36, v17 :: v_dual_add_f32 v90, v91, v90
	v_add_f32_e32 v91, v96, v165
	s_delay_alu instid0(VALU_DEP_2) | instskip(SKIP_1) | instid1(VALU_DEP_3)
	v_add_f32_e32 v17, v21, v17
	v_add_f32_e32 v21, v64, v201
	;; [unrolled: 1-line block ×3, first 2 shown]
	s_delay_alu instid0(VALU_DEP_2) | instskip(SKIP_1) | instid1(VALU_DEP_3)
	v_dual_add_f32 v100, v115, v156 :: v_dual_add_f32 v17, v21, v17
	v_add_f32_e32 v21, v72, v154
	v_add_f32_e32 v45, v80, v89
	s_delay_alu instid0(VALU_DEP_3) | instskip(SKIP_1) | instid1(VALU_DEP_4)
	v_add_f32_e32 v98, v100, v98
	v_add_f32_e32 v100, v113, v198
	;; [unrolled: 1-line block ×3, first 2 shown]
	s_delay_alu instid0(VALU_DEP_4) | instskip(SKIP_1) | instid1(VALU_DEP_4)
	v_dual_add_f32 v21, v74, v210 :: v_dual_add_f32 v18, v75, v45
	v_add_f32_e32 v16, v40, v16
	v_add_f32_e32 v60, v100, v98
	;; [unrolled: 1-line block ×3, first 2 shown]
	v_sub_f32_e32 v100, v213, v104
	s_delay_alu instid0(VALU_DEP_4) | instskip(NEXT) | instid1(VALU_DEP_2)
	v_dual_add_f32 v16, v25, v16 :: v_dual_sub_f32 v25, v199, v57
	v_add_f32_e32 v98, v100, v98
	v_sub_f32_e32 v100, v166, v106
	s_delay_alu instid0(VALU_DEP_3) | instskip(SKIP_1) | instid1(VALU_DEP_3)
	v_dual_add_f32 v16, v25, v16 :: v_dual_and_b32 v25, 0xffff, v70
	v_add_f32_e32 v24, v26, v24
	v_add_f32_e32 v86, v100, v98
	s_delay_alu instid0(VALU_DEP_2) | instskip(NEXT) | instid1(VALU_DEP_2)
	v_add_f32_e32 v20, v20, v24
	v_add_f32_e32 v86, v94, v86
	v_sub_f32_e32 v24, v190, v61
	s_delay_alu instid0(VALU_DEP_3) | instskip(SKIP_1) | instid1(VALU_DEP_3)
	v_add_f32_e32 v20, v22, v20
	v_sub_f32_e32 v22, v176, v63
	v_add_f32_e32 v16, v24, v16
	v_add_f32_e32 v59, v88, v86
	s_delay_alu instid0(VALU_DEP_4) | instskip(NEXT) | instid1(VALU_DEP_3)
	v_add_f32_e32 v20, v28, v20
	v_add_f32_e32 v16, v22, v16
	v_sub_f32_e32 v22, v178, v71
	s_delay_alu instid0(VALU_DEP_3) | instskip(NEXT) | instid1(VALU_DEP_2)
	v_add_f32_e32 v20, v30, v20
	v_add_f32_e32 v16, v22, v16
	v_sub_f32_e32 v22, v195, v73
	s_delay_alu instid0(VALU_DEP_3) | instskip(NEXT) | instid1(VALU_DEP_2)
	v_add_f32_e32 v20, v32, v20
	v_add_f32_e32 v19, v22, v16
	s_delay_alu instid0(VALU_DEP_2) | instskip(SKIP_2) | instid1(VALU_DEP_3)
	v_add_f32_e32 v24, v34, v20
	v_add_f32_e32 v20, v21, v17
	v_add_lshl_u32 v16, v67, v25, 3
	v_dual_add_f32 v17, v42, v41 :: v_dual_add_f32 v12, v12, v24
	ds_store_2addr_b64 v16, v[12:13], v[19:20] offset1:1
	ds_store_2addr_b64 v16, v[17:18], v[59:60] offset0:2 offset1:3
	ds_store_2addr_b64 v16, v[81:82], v[92:93] offset0:4 offset1:5
	;; [unrolled: 1-line block ×7, first 2 shown]
	ds_store_b64 v16, v[49:50] offset:128
.LBB0_7:
	s_wait_alu 0xfffe
	s_or_b32 exec_lo, exec_lo, s0
	v_lshlrev_b32_e32 v12, 6, v68
	s_load_b128 s[0:3], s[2:3], 0x0
	global_wb scope:SCOPE_SE
	s_wait_dscnt 0x0
	s_wait_kmcnt 0x0
	s_barrier_signal -1
	s_barrier_wait -1
	global_inv scope:SCOPE_SE
	s_clause 0x3
	global_load_b128 v[28:31], v12, s[6:7]
	global_load_b128 v[24:27], v12, s[6:7] offset:16
	global_load_b128 v[20:23], v12, s[6:7] offset:32
	;; [unrolled: 1-line block ×3, first 2 shown]
	v_add_lshl_u32 v72, v67, v68, 3
	ds_load_2addr_b64 v[32:35], v72 offset1:17
	ds_load_2addr_b64 v[36:39], v72 offset0:34 offset1:51
	ds_load_2addr_b64 v[40:43], v72 offset0:68 offset1:85
	ds_load_2addr_b64 v[44:47], v72 offset0:102 offset1:119
	ds_load_b64 v[12:13], v72 offset:1088
	v_lshl_add_u32 v71, v68, 3, v69
	s_wait_loadcnt_dscnt 0x304
	v_mul_f32_e32 v51, v35, v29
	s_wait_dscnt 0x3
	v_dual_mul_f32 v52, v34, v29 :: v_dual_mul_f32 v53, v37, v31
	s_wait_loadcnt_dscnt 0x0
	v_dual_mul_f32 v64, v46, v17 :: v_dual_mul_f32 v73, v13, v19
	v_dual_mul_f32 v54, v36, v31 :: v_dual_mul_f32 v55, v39, v25
	v_dual_mul_f32 v56, v38, v25 :: v_dual_mul_f32 v57, v41, v27
	v_dual_mul_f32 v58, v40, v27 :: v_dual_mul_f32 v59, v43, v21
	v_dual_mul_f32 v60, v42, v21 :: v_dual_mul_f32 v61, v45, v23
	v_dual_mul_f32 v62, v44, v23 :: v_dual_mul_f32 v63, v47, v17
	v_fma_f32 v34, v34, v28, -v51
	v_mul_f32_e32 v74, v12, v19
	v_fma_f32 v12, v12, v18, -v73
	v_fmac_f32_e32 v52, v35, v28
	v_fma_f32 v35, v36, v30, -v53
	v_fma_f32 v36, v38, v24, -v55
	v_fmac_f32_e32 v58, v41, v26
	v_fma_f32 v38, v44, v22, -v61
	v_fmac_f32_e32 v64, v47, v16
	v_dual_add_f32 v41, v34, v12 :: v_dual_fmac_f32 v74, v13, v18
	v_fma_f32 v13, v46, v16, -v63
	v_fmac_f32_e32 v54, v37, v30
	v_fma_f32 v37, v40, v26, -v57
	v_fma_f32 v40, v42, v20, -v59
	v_sub_f32_e32 v12, v34, v12
	v_fmac_f32_e32 v62, v45, v22
	v_add_f32_e32 v45, v36, v38
	s_delay_alu instid0(VALU_DEP_4) | instskip(SKIP_3) | instid1(VALU_DEP_4)
	v_dual_add_f32 v42, v52, v74 :: v_dual_sub_f32 v51, v37, v40
	v_fmac_f32_e32 v56, v39, v24
	v_add_f32_e32 v53, v37, v40
	v_mul_f32_e32 v55, 0x3f248dbb, v12
	v_dual_fmamk_f32 v59, v42, 0x3f441b7d, v33 :: v_dual_fmac_f32 v60, v43, v20
	s_delay_alu instid0(VALU_DEP_4)
	v_sub_f32_e32 v47, v56, v62
	v_dual_add_f32 v46, v56, v62 :: v_dual_add_f32 v43, v35, v13
	v_sub_f32_e32 v13, v35, v13
	v_dual_mul_f32 v61, 0xbf248dbb, v51 :: v_dual_add_f32 v44, v54, v64
	v_fmamk_f32 v57, v41, 0x3f441b7d, v32
	v_sub_f32_e32 v35, v54, v64
	v_dual_add_f32 v54, v58, v60 :: v_dual_mul_f32 v77, 0x3f7c1c5c, v51
	v_dual_fmamk_f32 v63, v53, 0x3f441b7d, v32 :: v_dual_sub_f32 v34, v52, v74
	v_add_f32_e32 v73, v51, v12
	v_dual_sub_f32 v52, v58, v60 :: v_dual_add_f32 v75, v43, v41
	s_delay_alu instid0(VALU_DEP_4) | instskip(NEXT) | instid1(VALU_DEP_3)
	v_dual_fmamk_f32 v64, v54, 0x3f441b7d, v33 :: v_dual_fmamk_f32 v79, v43, 0x3f441b7d, v32
	v_dual_mul_f32 v56, 0x3f248dbb, v34 :: v_dual_sub_f32 v73, v73, v13
	s_delay_alu instid0(VALU_DEP_3) | instskip(SKIP_1) | instid1(VALU_DEP_4)
	v_dual_add_f32 v74, v52, v34 :: v_dual_fmac_f32 v55, 0x3f7c1c5c, v13
	v_dual_add_f32 v76, v44, v42 :: v_dual_fmac_f32 v59, 0x3e31d0d4, v44
	v_dual_fmac_f32 v63, 0x3e31d0d4, v41 :: v_dual_fmac_f32 v64, 0x3e31d0d4, v42
	v_dual_sub_f32 v36, v36, v38 :: v_dual_add_f32 v39, v46, v33
	v_dual_mul_f32 v62, 0xbf248dbb, v52 :: v_dual_add_f32 v81, v53, v75
	v_dual_add_f32 v38, v45, v32 :: v_dual_fmac_f32 v57, 0x3e31d0d4, v43
	v_dual_mul_f32 v78, 0x3f7c1c5c, v52 :: v_dual_add_f32 v75, v45, v75
	v_dual_fmac_f32 v56, 0x3f7c1c5c, v35 :: v_dual_fmac_f32 v61, 0x3f7c1c5c, v12
	v_dual_sub_f32 v74, v74, v35 :: v_dual_fmac_f32 v79, 0x3e31d0d4, v53
	v_dual_add_f32 v82, v54, v76 :: v_dual_fmac_f32 v59, -0.5, v46
	v_fma_f32 v77, 0xbf248dbb, v13, -v77
	v_dual_add_f32 v76, v46, v76 :: v_dual_fmac_f32 v63, -0.5, v45
	v_fmamk_f32 v80, v44, 0x3f441b7d, v33
	v_dual_fmac_f32 v62, 0x3f7c1c5c, v34 :: v_dual_fmac_f32 v57, -0.5, v45
	v_fma_f32 v78, 0xbf248dbb, v35, -v78
	v_dual_fmac_f32 v55, 0x3f5db3d7, v36 :: v_dual_fmac_f32 v56, 0x3f5db3d7, v47
	s_delay_alu instid0(VALU_DEP_3)
	v_dual_fmac_f32 v61, 0xbf5db3d7, v36 :: v_dual_fmac_f32 v62, 0xbf5db3d7, v47
	v_dual_mul_f32 v84, 0x3f5db3d7, v74 :: v_dual_fmac_f32 v77, 0x3f5db3d7, v36
	v_dual_add_f32 v36, v37, v75 :: v_dual_fmac_f32 v57, 0xbf708fb2, v53
	v_dual_add_f32 v37, v58, v76 :: v_dual_fmac_f32 v80, 0x3e31d0d4, v54
	v_dual_fmac_f32 v79, -0.5, v45 :: v_dual_fmac_f32 v64, -0.5, v46
	v_dual_mul_f32 v83, 0x3f5db3d7, v73 :: v_dual_fmac_f32 v78, 0x3f5db3d7, v47
	s_delay_alu instid0(VALU_DEP_3)
	v_dual_fmac_f32 v80, -0.5, v46 :: v_dual_fmac_f32 v55, 0x3eaf1d44, v51
	v_dual_fmac_f32 v38, -0.5, v81 :: v_dual_fmac_f32 v39, -0.5, v82
	v_dual_fmac_f32 v56, 0x3eaf1d44, v52 :: v_dual_fmac_f32 v61, 0x3eaf1d44, v13
	v_dual_fmac_f32 v59, 0xbf708fb2, v54 :: v_dual_fmac_f32 v64, 0xbf708fb2, v44
	;; [unrolled: 1-line block ×3, first 2 shown]
	v_dual_fmac_f32 v63, 0xbf708fb2, v43 :: v_dual_add_f32 v12, v40, v36
	v_dual_add_f32 v13, v60, v37 :: v_dual_fmac_f32 v78, 0x3eaf1d44, v34
	s_delay_alu instid0(VALU_DEP_4) | instskip(SKIP_4) | instid1(VALU_DEP_4)
	v_sub_f32_e32 v37, v64, v61
	v_dual_fmac_f32 v79, 0xbf708fb2, v41 :: v_dual_fmac_f32 v80, 0xbf708fb2, v42
	v_dual_fmac_f32 v38, 0x3f5db3d7, v74 :: v_dual_sub_f32 v35, v59, v55
	v_dual_fmac_f32 v39, 0xbf5db3d7, v73 :: v_dual_add_f32 v36, v62, v63
	v_add_f32_e32 v34, v56, v57
	v_dual_add_f32 v44, v78, v79 :: v_dual_sub_f32 v45, v80, v77
	s_delay_alu instid0(VALU_DEP_4) | instskip(NEXT) | instid1(VALU_DEP_4)
	v_fma_f32 v40, -2.0, v84, v38
	v_fma_f32 v41, 2.0, v83, v39
	v_dual_add_f32 v32, v12, v32 :: v_dual_add_f32 v33, v13, v33
	v_fma_f32 v12, -2.0, v56, v34
	v_fma_f32 v42, -2.0, v62, v36
	;; [unrolled: 1-line block ×3, first 2 shown]
	v_fma_f32 v47, 2.0, v77, v45
	v_fma_f32 v43, 2.0, v61, v37
	;; [unrolled: 1-line block ×3, first 2 shown]
	ds_store_2addr_b64 v71, v[32:33], v[34:35] offset1:17
	ds_store_2addr_b64 v71, v[36:37], v[38:39] offset0:34 offset1:51
	ds_store_2addr_b64 v71, v[44:45], v[46:47] offset0:68 offset1:85
	;; [unrolled: 1-line block ×3, first 2 shown]
	ds_store_b64 v71, v[12:13] offset:1088
	global_wb scope:SCOPE_SE
	s_wait_dscnt 0x0
	s_barrier_signal -1
	s_barrier_wait -1
	global_inv scope:SCOPE_SE
	s_and_saveexec_b32 s8, vcc_lo
	s_cbranch_execz .LBB0_9
; %bb.8:
	s_add_nc_u64 s[6:7], s[4:5], 0x4c8
	s_clause 0x10
	global_load_b64 v[63:64], v66, s[4:5] offset:1224
	global_load_b64 v[93:94], v66, s[6:7] offset:72
	;; [unrolled: 1-line block ×17, first 2 shown]
	ds_load_2addr_b64 v[51:54], v71 offset1:9
	ds_load_2addr_b64 v[55:58], v71 offset0:18 offset1:27
	ds_load_2addr_b64 v[59:62], v71 offset0:36 offset1:45
	;; [unrolled: 1-line block ×7, first 2 shown]
	ds_load_b64 v[125:126], v71 offset:1152
	s_wait_loadcnt_dscnt 0x1008
	v_mul_f32_e32 v127, v52, v64
	s_wait_loadcnt 0xf
	v_dual_mul_f32 v128, v51, v64 :: v_dual_mul_f32 v129, v54, v94
	v_mul_f32_e32 v64, v53, v94
	s_wait_loadcnt_dscnt 0xd07
	v_dual_mul_f32 v130, v56, v96 :: v_dual_mul_f32 v131, v58, v98
	s_wait_loadcnt_dscnt 0xb06
	v_dual_mul_f32 v94, v55, v96 :: v_dual_mul_f32 v133, v62, v102
	v_mul_f32_e32 v96, v57, v98
	v_mul_f32_e32 v132, v60, v100
	s_wait_loadcnt_dscnt 0x905
	v_dual_mul_f32 v98, v59, v100 :: v_dual_mul_f32 v135, v76, v106
	v_mul_f32_e32 v100, v61, v102
	s_wait_loadcnt_dscnt 0x704
	v_dual_mul_f32 v134, v74, v104 :: v_dual_mul_f32 v137, v80, v110
	s_wait_loadcnt_dscnt 0x503
	v_dual_mul_f32 v102, v73, v104 :: v_dual_mul_f32 v139, v84, v114
	v_mul_f32_e32 v104, v75, v106
	s_wait_loadcnt_dscnt 0x302
	v_dual_mul_f32 v136, v78, v108 :: v_dual_mul_f32 v141, v88, v118
	s_wait_loadcnt_dscnt 0x101
	v_dual_mul_f32 v106, v77, v108 :: v_dual_mul_f32 v143, v92, v122
	v_mul_f32_e32 v108, v79, v110
	v_mul_f32_e32 v138, v82, v112
	v_mul_f32_e32 v110, v81, v112
	v_mul_f32_e32 v112, v83, v114
	v_mul_f32_e32 v140, v86, v116
	v_mul_f32_e32 v114, v85, v116
	v_mul_f32_e32 v116, v87, v118
	v_mul_f32_e32 v142, v90, v120
	v_mul_f32_e32 v118, v89, v120
	v_mul_f32_e32 v120, v91, v122
	s_wait_loadcnt_dscnt 0x0
	v_mul_f32_e32 v144, v126, v124
	v_mul_f32_e32 v122, v125, v124
	v_fma_f32 v127, v51, v63, -v127
	v_fmac_f32_e32 v128, v52, v63
	v_fma_f32 v63, v53, v93, -v129
	v_fmac_f32_e32 v64, v54, v93
	v_fma_f32 v93, v55, v95, -v130
	v_fmac_f32_e32 v94, v56, v95
	v_fma_f32 v95, v57, v97, -v131
	v_fmac_f32_e32 v96, v58, v97
	v_fma_f32 v97, v59, v99, -v132
	v_fmac_f32_e32 v98, v60, v99
	v_fma_f32 v99, v61, v101, -v133
	v_fmac_f32_e32 v100, v62, v101
	v_fma_f32 v101, v73, v103, -v134
	v_fmac_f32_e32 v102, v74, v103
	v_fma_f32 v103, v75, v105, -v135
	v_fmac_f32_e32 v104, v76, v105
	v_fma_f32 v105, v77, v107, -v136
	v_fmac_f32_e32 v106, v78, v107
	v_fma_f32 v107, v79, v109, -v137
	v_fmac_f32_e32 v108, v80, v109
	v_fma_f32 v109, v81, v111, -v138
	v_fmac_f32_e32 v110, v82, v111
	v_fma_f32 v111, v83, v113, -v139
	v_fmac_f32_e32 v112, v84, v113
	v_fma_f32 v113, v85, v115, -v140
	v_fmac_f32_e32 v114, v86, v115
	v_fma_f32 v115, v87, v117, -v141
	v_fmac_f32_e32 v116, v88, v117
	v_fma_f32 v117, v89, v119, -v142
	v_fmac_f32_e32 v118, v90, v119
	v_fma_f32 v119, v91, v121, -v143
	v_fmac_f32_e32 v120, v92, v121
	v_fma_f32 v121, v125, v123, -v144
	v_fmac_f32_e32 v122, v126, v123
	ds_store_2addr_b64 v71, v[127:128], v[63:64] offset1:9
	ds_store_2addr_b64 v71, v[93:94], v[95:96] offset0:18 offset1:27
	ds_store_2addr_b64 v71, v[97:98], v[99:100] offset0:36 offset1:45
	;; [unrolled: 1-line block ×7, first 2 shown]
	ds_store_b64 v71, v[121:122] offset:1152
.LBB0_9:
	s_wait_alu 0xfffe
	s_or_b32 exec_lo, exec_lo, s8
	global_wb scope:SCOPE_SE
	s_wait_dscnt 0x0
	s_barrier_signal -1
	s_barrier_wait -1
	global_inv scope:SCOPE_SE
	s_and_saveexec_b32 s6, vcc_lo
	s_cbranch_execz .LBB0_11
; %bb.10:
	ds_load_2addr_b64 v[32:35], v71 offset1:9
	ds_load_2addr_b64 v[36:39], v71 offset0:18 offset1:27
	ds_load_2addr_b64 v[44:47], v71 offset0:36 offset1:45
	;; [unrolled: 1-line block ×7, first 2 shown]
	ds_load_b64 v[49:50], v71 offset:1152
.LBB0_11:
	s_wait_alu 0xfffe
	s_or_b32 exec_lo, exec_lo, s6
	global_wb scope:SCOPE_SE
	s_wait_dscnt 0x0
	s_barrier_signal -1
	s_barrier_wait -1
	global_inv scope:SCOPE_SE
	s_and_saveexec_b32 s6, vcc_lo
	s_cbranch_execz .LBB0_13
; %bb.12:
	v_dual_add_f32 v64, v50, v35 :: v_dual_add_f32 v185, v7, v45
	v_dual_sub_f32 v78, v34, v49 :: v_dual_sub_f32 v73, v44, v6
	v_dual_add_f32 v192, v3, v37 :: v_dual_sub_f32 v75, v38, v0
	v_dual_add_f32 v190, v1, v39 :: v_dual_add_f32 v63, v11, v41
	s_delay_alu instid0(VALU_DEP_4) | instskip(SKIP_1) | instid1(VALU_DEP_4)
	v_mul_f32_e32 v92, 0xbf7ba420, v64
	v_sub_f32_e32 v74, v36, v2
	v_dual_mul_f32 v94, 0x3f6eb680, v192 :: v_dual_sub_f32 v77, v40, v10
	s_delay_alu instid0(VALU_DEP_4) | instskip(NEXT) | instid1(VALU_DEP_4)
	v_dual_add_f32 v186, v5, v47 :: v_dual_mul_f32 v95, 0xbf59a7d5, v190
	v_fmamk_f32 v51, v78, 0x3e3c28d5, v92
	v_sub_f32_e32 v76, v46, v4
	v_dual_sub_f32 v152, v35, v50 :: v_dual_sub_f32 v153, v37, v3
	s_delay_alu instid0(VALU_DEP_4) | instskip(NEXT) | instid1(VALU_DEP_4)
	v_fmamk_f32 v53, v75, 0x3f06c442, v95
	v_dual_fmamk_f32 v52, v74, 0xbeb8f4ab, v94 :: v_dual_add_f32 v51, v33, v51
	v_mul_f32_e32 v96, 0x3f3d2fb0, v185
	v_dual_mul_f32 v101, 0xbf1a4643, v186 :: v_dual_sub_f32 v172, v45, v7
	s_delay_alu instid0(VALU_DEP_3) | instskip(NEXT) | instid1(VALU_DEP_3)
	v_dual_add_f32 v80, v49, v34 :: v_dual_add_f32 v51, v52, v51
	v_dual_fmamk_f32 v52, v73, 0xbf2c7751, v96 :: v_dual_add_f32 v81, v2, v36
	v_dual_mul_f32 v98, 0x3ee437d1, v63 :: v_dual_sub_f32 v165, v39, v1
	s_delay_alu instid0(VALU_DEP_3) | instskip(SKIP_2) | instid1(VALU_DEP_3)
	v_dual_add_f32 v51, v53, v51 :: v_dual_mul_f32 v100, 0xbe3c28d5, v152
	v_fmamk_f32 v53, v76, 0x3f4c4adb, v101
	v_dual_add_f32 v175, v9, v43 :: v_dual_add_f32 v84, v6, v44
	v_add_f32_e32 v51, v52, v51
	s_delay_alu instid0(VALU_DEP_4) | instskip(SKIP_1) | instid1(VALU_DEP_4)
	v_fmamk_f32 v54, v80, 0xbf7ba420, v100
	v_dual_fmamk_f32 v52, v77, 0xbf65296c, v98 :: v_dual_add_f32 v83, v0, v38
	v_dual_mul_f32 v97, 0xbe8c1d8e, v175 :: v_dual_sub_f32 v82, v12, v14
	s_delay_alu instid0(VALU_DEP_4) | instskip(NEXT) | instid1(VALU_DEP_4)
	v_add_f32_e32 v51, v53, v51
	v_dual_mul_f32 v99, 0x3eb8f4ab, v153 :: v_dual_add_f32 v54, v32, v54
	v_add_f32_e32 v178, v15, v13
	v_sub_f32_e32 v173, v47, v5
	v_mul_f32_e32 v119, 0xbf59a7d5, v64
	s_delay_alu instid0(VALU_DEP_4) | instskip(NEXT) | instid1(VALU_DEP_4)
	v_fmamk_f32 v53, v81, 0x3f6eb680, v99
	v_dual_add_f32 v51, v52, v51 :: v_dual_mul_f32 v104, 0x3dbcf732, v178
	s_delay_alu instid0(VALU_DEP_4) | instskip(NEXT) | instid1(VALU_DEP_3)
	v_dual_sub_f32 v79, v42, v8 :: v_dual_mul_f32 v90, 0xbf4c4adb, v173
	v_dual_add_f32 v52, v53, v54 :: v_dual_mul_f32 v93, 0xbf06c442, v165
	s_delay_alu instid0(VALU_DEP_2) | instskip(SKIP_1) | instid1(VALU_DEP_3)
	v_dual_add_f32 v85, v4, v46 :: v_dual_fmamk_f32 v54, v79, 0x3f763a35, v97
	v_dual_sub_f32 v169, v41, v11 :: v_dual_mul_f32 v106, 0x3dbcf732, v190
	v_dual_fmamk_f32 v53, v83, 0xbf59a7d5, v93 :: v_dual_add_f32 v86, v10, v40
	s_delay_alu instid0(VALU_DEP_3) | instskip(SKIP_2) | instid1(VALU_DEP_4)
	v_add_f32_e32 v51, v54, v51
	v_fmamk_f32 v54, v82, 0xbf7ee86f, v104
	v_mul_f32_e32 v89, 0x3f2c7751, v172
	v_add_f32_e32 v52, v53, v52
	v_sub_f32_e32 v176, v43, v9
	v_dual_mul_f32 v91, 0x3f65296c, v169 :: v_dual_add_f32 v88, v8, v42
	s_delay_alu instid0(VALU_DEP_4) | instskip(NEXT) | instid1(VALU_DEP_3)
	v_fmamk_f32 v53, v84, 0x3f3d2fb0, v89
	v_dual_sub_f32 v177, v13, v15 :: v_dual_mul_f32 v102, 0xbf763a35, v176
	v_mul_f32_e32 v124, 0x3f65296c, v153
	s_delay_alu instid0(VALU_DEP_3)
	v_dual_fmamk_f32 v55, v86, 0x3ee437d1, v91 :: v_dual_add_f32 v52, v53, v52
	v_fmamk_f32 v53, v85, 0xbf1a4643, v90
	v_mul_f32_e32 v138, 0x3f7ee86f, v173
	v_mul_f32_e32 v109, 0x3dbcf732, v186
	v_fmamk_f32 v56, v78, 0x3f06c442, v119
	v_dual_mul_f32 v110, 0xbf1a4643, v185 :: v_dual_add_f32 v87, v14, v12
	v_dual_add_f32 v53, v53, v52 :: v_dual_add_f32 v52, v54, v51
	v_mul_f32_e32 v103, 0x3f7ee86f, v177
	v_dual_mul_f32 v125, 0xbf7ee86f, v165 :: v_dual_fmamk_f32 v58, v76, 0xbf7ee86f, v109
	v_mul_f32_e32 v105, 0x3ee437d1, v192
	s_delay_alu instid0(VALU_DEP_4) | instskip(SKIP_2) | instid1(VALU_DEP_4)
	v_add_f32_e32 v51, v55, v53
	v_dual_fmamk_f32 v55, v88, 0xbe8c1d8e, v102 :: v_dual_mul_f32 v118, 0xbe8c1d8e, v192
	v_mul_f32_e32 v123, 0xbf06c442, v152
	v_fmamk_f32 v54, v74, 0xbf65296c, v105
	v_dual_mul_f32 v145, 0xbe3c28d5, v169 :: v_dual_mul_f32 v140, 0xbe3c28d5, v176
	v_mul_f32_e32 v117, 0xbf7ba420, v63
	v_add_f32_e32 v51, v55, v51
	v_fmamk_f32 v55, v87, 0x3dbcf732, v103
	v_dual_add_f32 v53, v33, v56 :: v_dual_mul_f32 v108, 0xbf59a7d5, v185
	v_mul_f32_e32 v128, 0x3f4c4adb, v172
	v_mul_f32_e32 v121, 0xbf1a4643, v64
	s_delay_alu instid0(VALU_DEP_4) | instskip(SKIP_4) | instid1(VALU_DEP_4)
	v_add_f32_e32 v51, v55, v51
	v_fmamk_f32 v55, v80, 0xbf59a7d5, v123
	v_dual_add_f32 v53, v54, v53 :: v_dual_fmamk_f32 v54, v75, 0x3f7ee86f, v106
	v_mul_f32_e32 v144, 0xbeb8f4ab, v173
	v_mul_f32_e32 v111, 0x3f6eb680, v186
	v_dual_add_f32 v55, v32, v55 :: v_dual_fmamk_f32 v56, v81, 0x3ee437d1, v124
	v_mul_f32_e32 v162, 0x3f06c442, v153
	v_mul_f32_e32 v120, 0xbf763a35, v177
	v_mul_f32_e32 v137, 0x3f763a35, v153
	v_mul_f32_e32 v112, 0x3f3d2fb0, v175
	v_dual_add_f32 v55, v56, v55 :: v_dual_fmamk_f32 v56, v83, 0x3dbcf732, v125
	v_fmamk_f32 v60, v81, 0xbf59a7d5, v162
	v_mul_f32_e32 v133, 0x3f2c7751, v176
	v_mul_f32_e32 v113, 0xbe8c1d8e, v178
	s_delay_alu instid0(VALU_DEP_4) | instskip(SKIP_3) | instid1(VALU_DEP_3)
	v_dual_mul_f32 v126, 0xbeb8f4ab, v165 :: v_dual_add_f32 v55, v56, v55
	v_fmamk_f32 v56, v84, 0xbf1a4643, v128
	v_dual_fmamk_f32 v57, v74, 0xbf763a35, v118 :: v_dual_mul_f32 v160, 0xbf763a35, v152
	v_mul_f32_e32 v107, 0x3f6eb680, v190
	v_dual_mul_f32 v154, 0x3ee437d1, v186 :: v_dual_add_f32 v55, v56, v55
	v_dual_fmamk_f32 v56, v85, 0x3f6eb680, v144 :: v_dual_add_f32 v53, v54, v53
	v_fmamk_f32 v54, v73, 0xbf4c4adb, v110
	v_mul_f32_e32 v114, 0x3f3d2fb0, v63
	v_dual_mul_f32 v127, 0xbf06c442, v172 :: v_dual_mul_f32 v204, 0xbf06c442, v169
	s_delay_alu instid0(VALU_DEP_4) | instskip(NEXT) | instid1(VALU_DEP_4)
	v_add_f32_e32 v55, v56, v55
	v_dual_add_f32 v53, v54, v53 :: v_dual_fmamk_f32 v54, v76, 0x3eb8f4ab, v111
	v_fmamk_f32 v56, v86, 0xbf7ba420, v145
	v_dual_mul_f32 v129, 0x3f65296c, v177 :: v_dual_fmamk_f32 v62, v76, 0x3f65296c, v154
	s_delay_alu instid0(VALU_DEP_3) | instskip(NEXT) | instid1(VALU_DEP_3)
	v_dual_mul_f32 v150, 0x3f3d2fb0, v186 :: v_dual_add_f32 v53, v54, v53
	v_dual_fmamk_f32 v54, v77, 0x3e3c28d5, v117 :: v_dual_add_f32 v55, v56, v55
	v_fmamk_f32 v56, v88, 0x3f3d2fb0, v133
	v_mul_f32_e32 v116, 0x3ee437d1, v178
	v_mul_f32_e32 v139, 0xbf2c7751, v169
	s_delay_alu instid0(VALU_DEP_4) | instskip(NEXT) | instid1(VALU_DEP_4)
	v_dual_add_f32 v53, v54, v53 :: v_dual_fmamk_f32 v54, v79, 0xbf2c7751, v112
	v_dual_add_f32 v55, v56, v55 :: v_dual_mul_f32 v156, 0xbf59a7d5, v192
	v_fmamk_f32 v56, v87, 0xbe8c1d8e, v120
	v_mul_f32_e32 v115, 0xbf7ba420, v175
	s_delay_alu instid0(VALU_DEP_4) | instskip(SKIP_3) | instid1(VALU_DEP_3)
	v_add_f32_e32 v53, v54, v53
	v_dual_fmamk_f32 v54, v82, 0x3f763a35, v113 :: v_dual_mul_f32 v187, 0x3f763a35, v165
	v_mul_f32_e32 v155, 0xbe8c1d8e, v64
	v_dual_mul_f32 v197, 0xbf4c4adb, v153 :: v_dual_add_f32 v34, v34, v32
	v_add_f32_e32 v54, v54, v53
	v_fmamk_f32 v53, v78, 0x3f4c4adb, v121
	s_delay_alu instid0(VALU_DEP_3) | instskip(SKIP_2) | instid1(VALU_DEP_4)
	v_dual_mul_f32 v163, 0xbf1a4643, v175 :: v_dual_fmamk_f32 v180, v81, 0xbf1a4643, v197
	v_fmamk_f32 v59, v74, 0xbf06c442, v156
	v_mul_f32_e32 v179, 0x3f2c7751, v177
	v_add_f32_e32 v53, v33, v53
	v_mul_f32_e32 v157, 0x3f3d2fb0, v190
	v_mul_f32_e32 v158, 0x3ee437d1, v185
	v_dual_add_f32 v35, v35, v33 :: v_dual_fmac_f32 v94, 0x3eb8f4ab, v74
	s_delay_alu instid0(VALU_DEP_4)
	v_add_f32_e32 v53, v57, v53
	v_fmamk_f32 v57, v75, 0x3eb8f4ab, v107
	v_mul_f32_e32 v122, 0xbf65296c, v172
	v_mul_f32_e32 v132, 0x3f7ee86f, v169
	;; [unrolled: 1-line block ×4, first 2 shown]
	v_add_f32_e32 v53, v57, v53
	v_fmamk_f32 v57, v73, 0x3f06c442, v108
	v_mul_f32_e32 v189, 0x3f763a35, v172
	v_dual_mul_f32 v142, 0xbf1a4643, v178 :: v_dual_add_f32 v37, v37, v35
	v_mul_f32_e32 v35, 0xbf1a4643, v63
	s_delay_alu instid0(VALU_DEP_4) | instskip(SKIP_1) | instid1(VALU_DEP_4)
	v_add_f32_e32 v57, v57, v53
	v_dual_add_f32 v53, v56, v55 :: v_dual_mul_f32 v146, 0xbf7ba420, v192
	v_dual_add_f32 v37, v39, v37 :: v_dual_fmac_f32 v104, 0x3f7ee86f, v82
	s_delay_alu instid0(VALU_DEP_3)
	v_dual_add_f32 v56, v58, v57 :: v_dual_fmamk_f32 v57, v77, 0x3f2c7751, v114
	v_fmamk_f32 v39, v77, 0x3f4c4adb, v35
	v_fmamk_f32 v181, v84, 0xbe8c1d8e, v189
	v_mul_f32_e32 v161, 0x3dbcf732, v63
	v_mul_f32_e32 v191, 0x3eb8f4ab, v172
	v_dual_add_f32 v56, v57, v56 :: v_dual_fmamk_f32 v57, v79, 0x3e3c28d5, v115
	v_mul_f32_e32 v141, 0x3f6eb680, v175
	v_mul_f32_e32 v188, 0x3e3c28d5, v165
	v_dual_mul_f32 v151, 0x3f6eb680, v185 :: v_dual_mul_f32 v166, 0x3f6eb680, v63
	s_delay_alu instid0(VALU_DEP_4) | instskip(SKIP_3) | instid1(VALU_DEP_4)
	v_dual_add_f32 v56, v57, v56 :: v_dual_fmamk_f32 v57, v82, 0xbf65296c, v116
	v_mul_f32_e32 v170, 0xbf59a7d5, v63
	v_mul_f32_e32 v136, 0xbf4c4adb, v177
	v_fmamk_f32 v58, v81, 0xbe8c1d8e, v137
	v_dual_mul_f32 v143, 0x3f2c7751, v165 :: v_dual_add_f32 v56, v57, v56
	v_fmamk_f32 v57, v78, 0x3f763a35, v155
	v_mul_f32_e32 v148, 0xbf7ba420, v190
	v_mul_f32_e32 v131, 0xbe3c28d5, v173
	v_dual_mul_f32 v182, 0x3ee437d1, v64 :: v_dual_fmamk_f32 v61, v84, 0x3ee437d1, v122
	s_delay_alu instid0(VALU_DEP_4) | instskip(SKIP_3) | instid1(VALU_DEP_4)
	v_add_f32_e32 v57, v33, v57
	v_mul_f32_e32 v167, 0x3dbcf732, v175
	v_dual_mul_f32 v147, 0xbe8c1d8e, v190 :: v_dual_mul_f32 v214, 0xbe8c1d8e, v63
	v_dual_mul_f32 v171, 0xbf1a4643, v192 :: v_dual_mul_f32 v210, 0xbf1a4643, v190
	v_add_f32_e32 v57, v59, v57
	v_fmamk_f32 v59, v75, 0xbf2c7751, v157
	v_mul_f32_e32 v201, 0x3ee437d1, v175
	v_mul_f32_e32 v195, 0x3f4c4adb, v176
	;; [unrolled: 1-line block ×4, first 2 shown]
	v_add_f32_e32 v57, v59, v57
	v_fmamk_f32 v59, v73, 0x3f65296c, v158
	v_fmamk_f32 v206, v79, 0xbf65296c, v201
	v_mul_f32_e32 v212, 0xbf59a7d5, v186
	v_mul_f32_e32 v186, 0xbe8c1d8e, v186
	;; [unrolled: 1-line block ×3, first 2 shown]
	v_add_f32_e32 v57, v59, v57
	v_fmamk_f32 v59, v76, 0x3e3c28d5, v159
	v_mul_f32_e32 v193, 0xbf06c442, v177
	v_mul_f32_e32 v213, 0xbf2c7751, v152
	;; [unrolled: 1-line block ×3, first 2 shown]
	v_dual_add_f32 v37, v45, v37 :: v_dual_fmac_f32 v106, 0xbf7ee86f, v75
	v_add_f32_e32 v57, v59, v57
	v_fmamk_f32 v59, v77, 0xbf7ee86f, v161
	v_mul_f32_e32 v199, 0xbeb8f4ab, v169
	s_delay_alu instid0(VALU_DEP_4) | instskip(SKIP_1) | instid1(VALU_DEP_4)
	v_dual_mul_f32 v174, 0x3dbcf732, v64 :: v_dual_add_f32 v37, v47, v37
	v_mul_f32_e32 v211, 0xbf7ba420, v185
	v_add_f32_e32 v57, v59, v57
	v_fmamk_f32 v59, v79, 0x3eb8f4ab, v141
	v_fmac_f32_e32 v111, 0xbeb8f4ab, v76
	v_add_f32_e32 v37, v41, v37
	v_fmac_f32_e32 v117, 0xbe3c28d5, v77
	s_delay_alu instid0(VALU_DEP_4)
	v_dual_fmac_f32 v112, 0x3f2c7751, v79 :: v_dual_add_f32 v57, v59, v57
	v_fmamk_f32 v59, v82, 0x3f4c4adb, v142
	v_mul_f32_e32 v135, 0xbf4c4adb, v152
	v_dual_mul_f32 v134, 0xbeb8f4ab, v176 :: v_dual_add_f32 v37, v43, v37
	v_fmac_f32_e32 v121, 0xbf4c4adb, v78
	v_mul_f32_e32 v164, 0x3f3d2fb0, v178
	s_delay_alu instid0(VALU_DEP_4) | instskip(NEXT) | instid1(VALU_DEP_4)
	v_fmamk_f32 v55, v80, 0xbf1a4643, v135
	v_dual_fmac_f32 v118, 0x3f763a35, v74 :: v_dual_add_f32 v13, v13, v37
	v_fmac_f32_e32 v156, 0x3f06c442, v74
	s_delay_alu instid0(VALU_DEP_3) | instskip(SKIP_1) | instid1(VALU_DEP_4)
	v_dual_fmac_f32 v114, 0xbf2c7751, v77 :: v_dual_add_f32 v55, v32, v55
	v_fmac_f32_e32 v119, 0xbf06c442, v78
	v_add_f32_e32 v13, v15, v13
	v_fmac_f32_e32 v105, 0x3f65296c, v74
	v_mul_f32_e32 v43, 0xbf7ee86f, v172
	v_dual_add_f32 v55, v58, v55 :: v_dual_fmamk_f32 v58, v83, 0x3f6eb680, v126
	s_delay_alu instid0(VALU_DEP_4)
	v_add_f32_e32 v9, v9, v13
	v_fmac_f32_e32 v107, 0xbeb8f4ab, v75
	v_fmac_f32_e32 v95, 0xbf06c442, v75
	;; [unrolled: 1-line block ×3, first 2 shown]
	v_dual_add_f32 v55, v58, v55 :: v_dual_fmamk_f32 v58, v84, 0xbf59a7d5, v127
	v_dual_add_f32 v9, v11, v9 :: v_dual_fmamk_f32 v130, v74, 0x3f4c4adb, v171
	v_fmac_f32_e32 v116, 0x3f65296c, v82
	s_delay_alu instid0(VALU_DEP_3) | instskip(SKIP_1) | instid1(VALU_DEP_4)
	v_dual_mul_f32 v202, 0xbf65296c, v173 :: v_dual_add_f32 v55, v58, v55
	v_fmamk_f32 v58, v85, 0x3dbcf732, v138
	v_add_f32_e32 v5, v5, v9
	v_dual_fmac_f32 v109, 0x3f7ee86f, v76 :: v_dual_add_f32 v36, v36, v34
	s_delay_alu instid0(VALU_DEP_3) | instskip(NEXT) | instid1(VALU_DEP_3)
	v_dual_mul_f32 v168, 0xbf59a7d5, v178 :: v_dual_add_f32 v55, v58, v55
	v_dual_fmamk_f32 v58, v86, 0x3f3d2fb0, v139 :: v_dual_add_f32 v5, v7, v5
	s_delay_alu instid0(VALU_DEP_3) | instskip(SKIP_1) | instid1(VALU_DEP_3)
	v_add_f32_e32 v36, v38, v36
	v_mul_f32_e32 v196, 0xbf65296c, v152
	v_dual_mul_f32 v200, 0xbf7ee86f, v176 :: v_dual_add_f32 v55, v58, v55
	s_delay_alu instid0(VALU_DEP_4) | instskip(SKIP_2) | instid1(VALU_DEP_3)
	v_dual_fmamk_f32 v58, v88, 0xbf7ba420, v140 :: v_dual_add_f32 v1, v1, v5
	v_fmac_f32_e32 v115, 0xbe3c28d5, v79
	v_fmac_f32_e32 v101, 0xbf4c4adb, v76
	v_dual_mul_f32 v208, 0x3f3d2fb0, v64 :: v_dual_add_f32 v55, v58, v55
	v_fmamk_f32 v58, v87, 0x3ee437d1, v129
	v_dual_add_f32 v1, v3, v1 :: v_dual_fmamk_f32 v194, v76, 0xbf06c442, v212
	v_add_f32_e32 v36, v44, v36
	s_delay_alu instid0(VALU_DEP_3) | instskip(NEXT) | instid1(VALU_DEP_3)
	v_dual_mul_f32 v44, 0xbf2c7751, v153 :: v_dual_add_f32 v55, v58, v55
	v_dual_fmamk_f32 v58, v80, 0xbe8c1d8e, v160 :: v_dual_add_f32 v1, v50, v1
	s_delay_alu instid0(VALU_DEP_3) | instskip(SKIP_1) | instid1(VALU_DEP_3)
	v_dual_add_f32 v41, v46, v36 :: v_dual_fmac_f32 v96, 0x3f2c7751, v73
	v_mul_f32_e32 v36, 0xbf7ba420, v178
	v_add_f32_e32 v58, v32, v58
	v_mul_f32_e32 v46, 0xbf65296c, v165
	s_delay_alu instid0(VALU_DEP_4) | instskip(SKIP_3) | instid1(VALU_DEP_4)
	v_add_f32_e32 v40, v40, v41
	v_fmac_f32_e32 v98, 0x3f65296c, v77
	v_fmac_f32_e32 v92, 0xbe3c28d5, v78
	v_add_f32_e32 v58, v60, v58
	v_dual_fmamk_f32 v60, v83, 0x3f3d2fb0, v143 :: v_dual_add_f32 v37, v42, v40
	v_fmamk_f32 v40, v82, 0x3e3c28d5, v36
	v_fma_f32 v42, 0xbf1a4643, v81, -v197
	s_delay_alu instid0(VALU_DEP_3) | instskip(SKIP_1) | instid1(VALU_DEP_2)
	v_dual_add_f32 v11, v33, v92 :: v_dual_add_f32 v60, v60, v58
	v_dual_add_f32 v58, v59, v57 :: v_dual_fmamk_f32 v57, v78, 0x3f7ee86f, v174
	v_dual_fmac_f32 v174, 0xbf7ee86f, v78 :: v_dual_add_f32 v9, v94, v11
	s_delay_alu instid0(VALU_DEP_3) | instskip(SKIP_1) | instid1(VALU_DEP_4)
	v_add_f32_e32 v59, v61, v60
	v_fmamk_f32 v60, v85, 0xbf7ba420, v131
	v_add_f32_e32 v57, v33, v57
	v_fmamk_f32 v61, v74, 0x3e3c28d5, v146
	v_dual_fmac_f32 v146, 0xbe3c28d5, v74 :: v_dual_add_f32 v15, v12, v37
	s_delay_alu instid0(VALU_DEP_4) | instskip(NEXT) | instid1(VALU_DEP_3)
	v_dual_add_f32 v59, v60, v59 :: v_dual_fmamk_f32 v60, v86, 0x3dbcf732, v132
	v_add_f32_e32 v57, v61, v57
	v_fmamk_f32 v61, v75, 0xbf763a35, v147
	s_delay_alu instid0(VALU_DEP_4) | instskip(SKIP_2) | instid1(VALU_DEP_4)
	v_add_f32_e32 v13, v14, v15
	v_mul_f32_e32 v15, 0xbf4c4adb, v169
	v_add_f32_e32 v59, v60, v59
	v_dual_fmamk_f32 v60, v88, 0x3f6eb680, v134 :: v_dual_add_f32 v57, v61, v57
	s_delay_alu instid0(VALU_DEP_4) | instskip(SKIP_1) | instid1(VALU_DEP_3)
	v_dual_fmamk_f32 v61, v73, 0xbeb8f4ab, v151 :: v_dual_add_f32 v8, v8, v13
	v_mul_f32_e32 v215, 0xbf7ee86f, v153
	v_dual_add_f32 v59, v60, v59 :: v_dual_fmamk_f32 v60, v87, 0xbf1a4643, v136
	s_delay_alu instid0(VALU_DEP_3) | instskip(NEXT) | instid1(VALU_DEP_3)
	v_dual_add_f32 v61, v61, v57 :: v_dual_add_f32 v8, v10, v8
	v_fmamk_f32 v205, v81, 0x3dbcf732, v215
	v_fmac_f32_e32 v147, 0x3f763a35, v75
	s_delay_alu instid0(VALU_DEP_3) | instskip(SKIP_4) | instid1(VALU_DEP_4)
	v_dual_add_f32 v57, v60, v59 :: v_dual_add_f32 v60, v62, v61
	v_fmamk_f32 v61, v77, 0x3f06c442, v170
	v_fmamk_f32 v59, v80, 0x3dbcf732, v183
	v_fmac_f32_e32 v151, 0x3eb8f4ab, v73
	v_fmac_f32_e32 v201, 0x3f65296c, v79
	v_dual_add_f32 v7, v95, v9 :: v_dual_add_f32 v60, v61, v60
	v_fmamk_f32 v61, v79, 0xbf4c4adb, v163
	v_dual_add_f32 v59, v32, v59 :: v_dual_fmamk_f32 v62, v81, 0xbf7ba420, v184
	s_delay_alu instid0(VALU_DEP_3) | instskip(NEXT) | instid1(VALU_DEP_3)
	v_dual_add_f32 v5, v96, v7 :: v_dual_fmac_f32 v158, 0xbf65296c, v73
	v_dual_add_f32 v60, v61, v60 :: v_dual_fmamk_f32 v61, v82, 0xbf2c7751, v164
	s_delay_alu instid0(VALU_DEP_3) | instskip(NEXT) | instid1(VALU_DEP_3)
	v_dual_add_f32 v59, v62, v59 :: v_dual_fmamk_f32 v62, v83, 0xbe8c1d8e, v187
	v_add_f32_e32 v3, v101, v5
	v_fma_f32 v5, 0xbf59a7d5, v83, -v93
	s_delay_alu instid0(VALU_DEP_4) | instskip(SKIP_3) | instid1(VALU_DEP_4)
	v_dual_add_f32 v60, v61, v60 :: v_dual_fmamk_f32 v61, v78, 0x3f65296c, v182
	v_add_f32_e32 v4, v4, v8
	v_mul_f32_e32 v152, 0xbeb8f4ab, v152
	v_mul_f32_e32 v34, 0xbf59a7d5, v175
	v_dual_fmac_f32 v142, 0xbf4c4adb, v82 :: v_dual_add_f32 v61, v33, v61
	s_delay_alu instid0(VALU_DEP_3) | instskip(SKIP_2) | instid1(VALU_DEP_4)
	v_dual_add_f32 v4, v6, v4 :: v_dual_fmamk_f32 v45, v80, 0x3f6eb680, v152
	v_fmac_f32_e32 v110, 0x3f4c4adb, v73
	v_fmamk_f32 v41, v83, 0x3ee437d1, v46
	v_dual_add_f32 v61, v130, v61 :: v_dual_fmamk_f32 v130, v75, 0xbe3c28d5, v148
	s_delay_alu instid0(VALU_DEP_4) | instskip(SKIP_2) | instid1(VALU_DEP_4)
	v_add_f32_e32 v0, v0, v4
	v_fma_f32 v4, 0xbf7ba420, v80, -v100
	v_fmac_f32_e32 v108, 0xbf06c442, v73
	v_dual_fmac_f32 v154, 0xbf65296c, v76 :: v_dual_add_f32 v61, v130, v61
	v_dual_fmamk_f32 v130, v73, 0xbf763a35, v149 :: v_dual_add_f32 v59, v62, v59
	v_fmamk_f32 v62, v84, 0x3f6eb680, v191
	v_add_f32_e32 v0, v2, v0
	v_add_f32_e32 v2, v98, v3
	s_delay_alu instid0(VALU_DEP_4)
	v_add_f32_e32 v61, v130, v61
	v_add_f32_e32 v3, v32, v4
	v_dual_add_f32 v59, v62, v59 :: v_dual_fmamk_f32 v62, v85, 0x3ee437d1, v202
	v_add_f32_e32 v0, v49, v0
	v_fma_f32 v4, 0x3f6eb680, v81, -v99
	v_fmac_f32_e32 v149, 0x3f763a35, v73
	v_fma_f32 v49, 0x3dbcf732, v81, -v215
	v_add_f32_e32 v59, v62, v59
	v_fmamk_f32 v62, v86, 0xbf59a7d5, v204
	v_add_f32_e32 v4, v4, v3
	v_fmac_f32_e32 v170, 0xbf06c442, v77
	v_fmac_f32_e32 v148, 0x3e3c28d5, v75
	s_delay_alu instid0(VALU_DEP_4) | instskip(SKIP_3) | instid1(VALU_DEP_3)
	v_dual_fmac_f32 v182, 0xbf65296c, v78 :: v_dual_add_f32 v59, v62, v59
	v_fmamk_f32 v62, v88, 0xbf1a4643, v195
	v_add_f32_e32 v4, v5, v4
	v_fma_f32 v5, 0x3f3d2fb0, v84, -v89
	v_dual_fmac_f32 v164, 0x3f2c7751, v82 :: v_dual_add_f32 v59, v62, v59
	v_fmamk_f32 v62, v87, 0x3f3d2fb0, v179
	v_fmamk_f32 v130, v76, 0xbf2c7751, v150
	s_delay_alu instid0(VALU_DEP_4) | instskip(SKIP_1) | instid1(VALU_DEP_4)
	v_add_f32_e32 v4, v5, v4
	v_fma_f32 v5, 0xbf1a4643, v85, -v90
	v_dual_fmac_f32 v150, 0x3f2c7751, v76 :: v_dual_add_f32 v59, v62, v59
	s_delay_alu instid0(VALU_DEP_4) | instskip(SKIP_1) | instid1(VALU_DEP_4)
	v_dual_fmamk_f32 v62, v80, 0x3ee437d1, v196 :: v_dual_add_f32 v61, v130, v61
	v_fmamk_f32 v130, v77, 0x3eb8f4ab, v166
	v_add_f32_e32 v4, v5, v4
	v_fma_f32 v5, 0x3ee437d1, v86, -v91
	s_delay_alu instid0(VALU_DEP_4) | instskip(SKIP_2) | instid1(VALU_DEP_4)
	v_add_f32_e32 v62, v32, v62
	v_fmac_f32_e32 v166, 0xbeb8f4ab, v77
	v_dual_add_f32 v61, v130, v61 :: v_dual_fmamk_f32 v130, v79, 0x3f7ee86f, v167
	v_add_f32_e32 v4, v5, v4
	s_delay_alu instid0(VALU_DEP_4)
	v_add_f32_e32 v62, v180, v62
	v_fmamk_f32 v180, v83, 0xbf7ba420, v188
	v_fma_f32 v5, 0xbe8c1d8e, v88, -v102
	v_add_f32_e32 v61, v130, v61
	v_fmamk_f32 v130, v82, 0x3f06c442, v168
	v_fmac_f32_e32 v168, 0xbf06c442, v82
	v_add_f32_e32 v180, v180, v62
	v_fmac_f32_e32 v171, 0xbf4c4adb, v74
	s_delay_alu instid0(VALU_DEP_4) | instskip(NEXT) | instid1(VALU_DEP_3)
	v_dual_fmac_f32 v141, 0xbeb8f4ab, v79 :: v_dual_add_f32 v62, v130, v61
	v_dual_fmamk_f32 v61, v78, 0x3f2c7751, v208 :: v_dual_add_f32 v130, v181, v180
	v_fmamk_f32 v180, v85, 0x3f3d2fb0, v198
	v_fmamk_f32 v181, v74, 0x3f7ee86f, v209
	v_fmac_f32_e32 v97, 0xbf763a35, v79
	s_delay_alu instid0(VALU_DEP_4)
	v_add_f32_e32 v61, v33, v61
	v_add_f32_e32 v4, v5, v4
	v_add_f32_e32 v130, v180, v130
	v_fmamk_f32 v180, v86, 0x3f6eb680, v199
	v_add_f32_e32 v2, v97, v2
	v_add_f32_e32 v61, v181, v61
	v_fmamk_f32 v181, v75, 0x3f4c4adb, v210
	v_fma_f32 v5, 0x3dbcf732, v87, -v103
	v_add_f32_e32 v130, v180, v130
	v_fmamk_f32 v180, v88, 0x3dbcf732, v200
	v_add_f32_e32 v3, v104, v2
	v_add_f32_e32 v61, v181, v61
	v_fmamk_f32 v181, v73, 0x3e3c28d5, v211
	v_fma_f32 v2, 0xbf59a7d5, v80, -v123
	v_add_f32_e32 v130, v180, v130
	v_fmamk_f32 v180, v87, 0xbf59a7d5, v193
	s_delay_alu instid0(VALU_DEP_4) | instskip(NEXT) | instid1(VALU_DEP_4)
	v_dual_fmac_f32 v208, 0xbf2c7751, v78 :: v_dual_add_f32 v181, v181, v61
	v_add_f32_e32 v2, v32, v2
	v_fmac_f32_e32 v155, 0xbf763a35, v78
	v_fmac_f32_e32 v161, 0x3f7ee86f, v77
	s_delay_alu instid0(VALU_DEP_4) | instskip(SKIP_3) | instid1(VALU_DEP_3)
	v_dual_fmac_f32 v210, 0xbf4c4adb, v75 :: v_dual_add_f32 v181, v194, v181
	v_fmamk_f32 v194, v77, 0xbf763a35, v214
	v_fmac_f32_e32 v211, 0xbe3c28d5, v73
	v_fmac_f32_e32 v212, 0x3f06c442, v76
	v_dual_add_f32 v194, v194, v181 :: v_dual_mul_f32 v181, 0xbe3c28d5, v172
	s_delay_alu instid0(VALU_DEP_1) | instskip(SKIP_4) | instid1(VALU_DEP_3)
	v_add_f32_e32 v206, v206, v194
	v_dual_mul_f32 v194, 0x3f06c442, v173 :: v_dual_add_f32 v61, v180, v130
	v_fmamk_f32 v130, v80, 0x3f3d2fb0, v213
	v_mul_f32_e32 v180, 0xbf4c4adb, v165
	v_fmamk_f32 v217, v84, 0xbf7ba420, v181
	v_add_f32_e32 v203, v32, v130
	s_delay_alu instid0(VALU_DEP_3) | instskip(NEXT) | instid1(VALU_DEP_2)
	v_fmamk_f32 v207, v83, 0xbf1a4643, v180
	v_dual_mul_f32 v130, 0x3f6eb680, v178 :: v_dual_add_f32 v205, v205, v203
	v_mul_f32_e32 v203, 0x3f6eb680, v64
	s_delay_alu instid0(VALU_DEP_2) | instskip(NEXT) | instid1(VALU_DEP_3)
	v_fmamk_f32 v216, v82, 0xbeb8f4ab, v130
	v_dual_fmac_f32 v130, 0x3eb8f4ab, v82 :: v_dual_add_f32 v207, v207, v205
	v_mul_f32_e32 v205, 0x3f3d2fb0, v192
	v_mul_f32_e32 v192, 0x3f763a35, v169
	s_delay_alu instid0(VALU_DEP_4) | instskip(NEXT) | instid1(VALU_DEP_4)
	v_add_f32_e32 v64, v216, v206
	v_dual_fmamk_f32 v206, v78, 0x3eb8f4ab, v203 :: v_dual_add_f32 v207, v217, v207
	v_fmamk_f32 v216, v85, 0xbf59a7d5, v194
	s_delay_alu instid0(VALU_DEP_4) | instskip(NEXT) | instid1(VALU_DEP_3)
	v_fmamk_f32 v219, v86, 0xbe8c1d8e, v192
	v_dual_fmamk_f32 v218, v74, 0x3f2c7751, v205 :: v_dual_add_f32 v217, v33, v206
	v_mul_f32_e32 v206, 0x3ee437d1, v190
	s_delay_alu instid0(VALU_DEP_4) | instskip(SKIP_2) | instid1(VALU_DEP_4)
	v_add_f32_e32 v216, v216, v207
	v_mul_f32_e32 v190, 0x3f65296c, v176
	v_mul_f32_e32 v207, 0x3dbcf732, v185
	v_dual_add_f32 v217, v218, v217 :: v_dual_fmamk_f32 v218, v75, 0x3f65296c, v206
	s_delay_alu instid0(VALU_DEP_3) | instskip(SKIP_1) | instid1(VALU_DEP_3)
	v_dual_add_f32 v216, v219, v216 :: v_dual_fmamk_f32 v219, v88, 0x3ee437d1, v190
	v_mul_f32_e32 v185, 0x3eb8f4ab, v177
	v_dual_fmac_f32 v206, 0xbf65296c, v75 :: v_dual_add_f32 v217, v218, v217
	v_fmamk_f32 v218, v73, 0x3f7ee86f, v207
	s_delay_alu instid0(VALU_DEP_4) | instskip(NEXT) | instid1(VALU_DEP_4)
	v_add_f32_e32 v216, v219, v216
	v_fmamk_f32 v219, v87, 0x3f6eb680, v185
	s_delay_alu instid0(VALU_DEP_3) | instskip(NEXT) | instid1(VALU_DEP_2)
	v_dual_add_f32 v217, v218, v217 :: v_dual_fmamk_f32 v218, v76, 0x3f763a35, v186
	v_add_f32_e32 v63, v219, v216
	v_fmac_f32_e32 v186, 0xbf763a35, v76
	s_delay_alu instid0(VALU_DEP_3) | instskip(NEXT) | instid1(VALU_DEP_1)
	v_add_f32_e32 v216, v218, v217
	v_add_f32_e32 v38, v39, v216
	v_fmamk_f32 v39, v79, 0x3f06c442, v34
	v_fmac_f32_e32 v34, 0xbf06c442, v79
	s_delay_alu instid0(VALU_DEP_2) | instskip(SKIP_2) | instid1(VALU_DEP_3)
	v_dual_add_f32 v38, v39, v38 :: v_dual_add_f32 v39, v32, v45
	v_fmamk_f32 v45, v81, 0x3f3d2fb0, v44
	v_fmac_f32_e32 v209, 0xbf7ee86f, v74
	v_dual_fmac_f32 v163, 0x3f4c4adb, v79 :: v_dual_add_f32 v12, v40, v38
	s_delay_alu instid0(VALU_DEP_3) | instskip(SKIP_2) | instid1(VALU_DEP_3)
	v_dual_mul_f32 v40, 0xbf763a35, v173 :: v_dual_add_f32 v39, v45, v39
	v_fma_f32 v38, 0xbf59a7d5, v86, -v204
	v_fma_f32 v45, 0x3dbcf732, v88, -v200
	v_fmamk_f32 v14, v85, 0xbe8c1d8e, v40
	s_delay_alu instid0(VALU_DEP_4) | instskip(SKIP_2) | instid1(VALU_DEP_2)
	v_add_f32_e32 v39, v41, v39
	v_fmamk_f32 v41, v84, 0x3dbcf732, v43
	v_fma_f32 v40, 0xbe8c1d8e, v85, -v40
	v_add_f32_e32 v37, v41, v39
	v_mul_f32_e32 v39, 0xbf06c442, v176
	v_mul_f32_e32 v41, 0xbe3c28d5, v177
	s_delay_alu instid0(VALU_DEP_3) | instskip(SKIP_1) | instid1(VALU_DEP_4)
	v_add_f32_e32 v13, v14, v37
	v_fmamk_f32 v14, v86, 0xbf1a4643, v15
	v_fmamk_f32 v8, v88, 0xbf59a7d5, v39
	s_delay_alu instid0(VALU_DEP_4) | instskip(SKIP_1) | instid1(VALU_DEP_4)
	v_fmamk_f32 v7, v87, 0xbf7ba420, v41
	v_fma_f32 v37, 0xbf7ba420, v81, -v184
	v_add_f32_e32 v10, v14, v13
	v_fma_f32 v14, 0xbf59a7d5, v81, -v162
	s_delay_alu instid0(VALU_DEP_2) | instskip(SKIP_2) | instid1(VALU_DEP_3)
	v_add_f32_e32 v6, v8, v10
	v_fma_f32 v8, 0xbf7ba420, v86, -v145
	v_fma_f32 v10, 0xbe8c1d8e, v81, -v137
	v_dual_add_f32 v11, v7, v6 :: v_dual_add_f32 v6, v33, v119
	v_fma_f32 v7, 0x3ee437d1, v81, -v124
	s_delay_alu instid0(VALU_DEP_2) | instskip(NEXT) | instid1(VALU_DEP_2)
	v_add_f32_e32 v6, v105, v6
	v_add_f32_e32 v2, v7, v2
	v_fma_f32 v7, 0x3dbcf732, v83, -v125
	s_delay_alu instid0(VALU_DEP_3) | instskip(NEXT) | instid1(VALU_DEP_2)
	v_add_f32_e32 v6, v106, v6
	v_add_f32_e32 v2, v7, v2
	v_fma_f32 v7, 0xbf1a4643, v84, -v128
	s_delay_alu instid0(VALU_DEP_3) | instskip(NEXT) | instid1(VALU_DEP_2)
	;; [unrolled: 4-line block ×3, first 2 shown]
	v_add_f32_e32 v6, v111, v6
	v_add_f32_e32 v7, v7, v2
	s_delay_alu instid0(VALU_DEP_2) | instskip(SKIP_1) | instid1(VALU_DEP_2)
	v_add_f32_e32 v6, v117, v6
	v_add_f32_e32 v2, v5, v4
	;; [unrolled: 1-line block ×3, first 2 shown]
	s_delay_alu instid0(VALU_DEP_4)
	v_add_f32_e32 v6, v8, v7
	v_fma_f32 v7, 0x3f3d2fb0, v88, -v133
	v_add_f32_e32 v8, v33, v121
	v_fma_f32 v15, 0xbf1a4643, v86, -v15
	;; [unrolled: 2-line block ×4, first 2 shown]
	v_add_f32_e32 v8, v118, v8
	s_delay_alu instid0(VALU_DEP_2) | instskip(NEXT) | instid1(VALU_DEP_2)
	v_dual_add_f32 v9, v32, v4 :: v_dual_add_f32 v4, v7, v6
	v_add_f32_e32 v6, v107, v8
	v_fma_f32 v8, 0x3f6eb680, v83, -v126
	s_delay_alu instid0(VALU_DEP_3) | instskip(SKIP_1) | instid1(VALU_DEP_4)
	v_add_f32_e32 v7, v10, v9
	v_fma_f32 v10, 0xbf7ba420, v88, -v140
	v_add_f32_e32 v6, v108, v6
	s_delay_alu instid0(VALU_DEP_3) | instskip(SKIP_1) | instid1(VALU_DEP_3)
	v_add_f32_e32 v7, v8, v7
	v_fma_f32 v8, 0xbf59a7d5, v84, -v127
	v_add_f32_e32 v6, v109, v6
	v_fma_f32 v41, 0xbf7ba420, v87, -v41
	s_delay_alu instid0(VALU_DEP_3) | instskip(SKIP_1) | instid1(VALU_DEP_1)
	v_add_f32_e32 v7, v8, v7
	v_fma_f32 v8, 0x3dbcf732, v85, -v138
	v_dual_add_f32 v6, v114, v6 :: v_dual_add_f32 v7, v8, v7
	v_fma_f32 v8, 0x3f3d2fb0, v86, -v139
	s_delay_alu instid0(VALU_DEP_2) | instskip(NEXT) | instid1(VALU_DEP_2)
	v_add_f32_e32 v6, v115, v6
	v_add_f32_e32 v8, v8, v7
	s_delay_alu instid0(VALU_DEP_2) | instskip(SKIP_1) | instid1(VALU_DEP_3)
	v_add_f32_e32 v7, v116, v6
	v_fma_f32 v6, 0xbe8c1d8e, v80, -v160
	v_add_f32_e32 v8, v10, v8
	v_fma_f32 v10, 0x3ee437d1, v87, -v129
	s_delay_alu instid0(VALU_DEP_1) | instskip(NEXT) | instid1(VALU_DEP_1)
	v_dual_add_f32 v13, v32, v6 :: v_dual_add_f32 v6, v10, v8
	v_add_f32_e32 v10, v14, v13
	v_fma_f32 v13, 0x3f3d2fb0, v83, -v143
	v_add_f32_e32 v14, v33, v174
	s_delay_alu instid0(VALU_DEP_2) | instskip(SKIP_1) | instid1(VALU_DEP_3)
	v_add_f32_e32 v10, v13, v10
	v_fma_f32 v13, 0x3ee437d1, v84, -v122
	v_add_f32_e32 v14, v146, v14
	s_delay_alu instid0(VALU_DEP_2) | instskip(SKIP_1) | instid1(VALU_DEP_3)
	v_add_f32_e32 v10, v13, v10
	v_fma_f32 v13, 0xbf7ba420, v85, -v131
	v_dual_add_f32 v14, v147, v14 :: v_dual_add_f32 v9, v33, v155
	s_delay_alu instid0(VALU_DEP_2) | instskip(NEXT) | instid1(VALU_DEP_2)
	v_add_f32_e32 v10, v13, v10
	v_add_f32_e32 v14, v151, v14
	v_fma_f32 v13, 0x3dbcf732, v86, -v132
	s_delay_alu instid0(VALU_DEP_2) | instskip(NEXT) | instid1(VALU_DEP_2)
	v_dual_add_f32 v9, v156, v9 :: v_dual_add_f32 v14, v154, v14
	v_add_f32_e32 v10, v13, v10
	v_fma_f32 v13, 0x3f6eb680, v88, -v134
	s_delay_alu instid0(VALU_DEP_3) | instskip(NEXT) | instid1(VALU_DEP_2)
	v_dual_fmac_f32 v157, 0x3f2c7751, v75 :: v_dual_add_f32 v14, v170, v14
	v_dual_fmac_f32 v159, 0xbe3c28d5, v76 :: v_dual_add_f32 v10, v13, v10
	s_delay_alu instid0(VALU_DEP_2) | instskip(SKIP_1) | instid1(VALU_DEP_2)
	v_add_f32_e32 v9, v157, v9
	v_fma_f32 v13, 0xbf1a4643, v87, -v136
	v_add_f32_e32 v9, v158, v9
	s_delay_alu instid0(VALU_DEP_1) | instskip(NEXT) | instid1(VALU_DEP_1)
	v_add_f32_e32 v9, v159, v9
	v_add_f32_e32 v9, v161, v9
	s_delay_alu instid0(VALU_DEP_1) | instskip(NEXT) | instid1(VALU_DEP_1)
	v_add_f32_e32 v8, v141, v9
	v_add_f32_e32 v9, v142, v8
	v_fma_f32 v8, 0x3dbcf732, v80, -v183
	s_delay_alu instid0(VALU_DEP_1) | instskip(NEXT) | instid1(VALU_DEP_1)
	v_add_f32_e32 v8, v32, v8
	v_add_f32_e32 v8, v37, v8
	v_fma_f32 v37, 0xbe8c1d8e, v83, -v187
	s_delay_alu instid0(VALU_DEP_1) | instskip(SKIP_1) | instid1(VALU_DEP_1)
	v_add_f32_e32 v8, v37, v8
	v_fma_f32 v37, 0x3f6eb680, v84, -v191
	v_add_f32_e32 v8, v37, v8
	v_fma_f32 v37, 0x3ee437d1, v85, -v202
	s_delay_alu instid0(VALU_DEP_1) | instskip(SKIP_2) | instid1(VALU_DEP_1)
	v_add_f32_e32 v37, v37, v8
	v_add_f32_e32 v8, v13, v10
	;; [unrolled: 1-line block ×4, first 2 shown]
	v_fma_f32 v10, 0x3ee437d1, v80, -v196
	s_delay_alu instid0(VALU_DEP_1) | instskip(NEXT) | instid1(VALU_DEP_1)
	v_add_f32_e32 v10, v32, v10
	v_add_f32_e32 v10, v42, v10
	v_add_f32_e32 v42, v33, v208
	s_delay_alu instid0(VALU_DEP_1) | instskip(NEXT) | instid1(VALU_DEP_1)
	v_add_f32_e32 v42, v209, v42
	v_add_f32_e32 v42, v210, v42
	;; [unrolled: 1-line block ×3, first 2 shown]
	v_fma_f32 v37, 0xbf1a4643, v88, -v195
	v_add_f32_e32 v38, v33, v182
	s_delay_alu instid0(VALU_DEP_2) | instskip(SKIP_1) | instid1(VALU_DEP_3)
	v_dual_add_f32 v42, v211, v42 :: v_dual_add_f32 v13, v37, v13
	v_fma_f32 v37, 0x3f3d2fb0, v87, -v179
	v_add_f32_e32 v38, v171, v38
	s_delay_alu instid0(VALU_DEP_2) | instskip(NEXT) | instid1(VALU_DEP_2)
	v_dual_add_f32 v42, v212, v42 :: v_dual_add_f32 v13, v37, v13
	v_add_f32_e32 v37, v148, v38
	v_fma_f32 v38, 0xbf7ba420, v83, -v188
	s_delay_alu instid0(VALU_DEP_1) | instskip(SKIP_1) | instid1(VALU_DEP_2)
	v_dual_add_f32 v37, v149, v37 :: v_dual_add_f32 v10, v38, v10
	v_fma_f32 v38, 0xbe8c1d8e, v84, -v189
	v_add_f32_e32 v37, v150, v37
	s_delay_alu instid0(VALU_DEP_2) | instskip(SKIP_1) | instid1(VALU_DEP_3)
	v_add_f32_e32 v10, v38, v10
	v_fma_f32 v38, 0x3f3d2fb0, v85, -v198
	v_add_f32_e32 v37, v166, v37
	s_delay_alu instid0(VALU_DEP_2) | instskip(SKIP_1) | instid1(VALU_DEP_1)
	v_add_f32_e32 v10, v38, v10
	v_fma_f32 v38, 0x3f6eb680, v86, -v199
	v_dual_add_f32 v10, v38, v10 :: v_dual_fmac_f32 v167, 0xbf7ee86f, v79
	s_delay_alu instid0(VALU_DEP_1) | instskip(SKIP_2) | instid1(VALU_DEP_1)
	v_add_f32_e32 v10, v45, v10
	v_fma_f32 v45, 0xbf59a7d5, v87, -v193
	v_fmac_f32_e32 v214, 0x3f763a35, v77
	v_dual_add_f32 v37, v167, v37 :: v_dual_add_f32 v42, v214, v42
	s_delay_alu instid0(VALU_DEP_1) | instskip(SKIP_1) | instid1(VALU_DEP_1)
	v_add_f32_e32 v38, v168, v37
	v_fma_f32 v37, 0x3f3d2fb0, v80, -v213
	v_add_f32_e32 v47, v32, v37
	v_add_f32_e32 v37, v45, v10
	;; [unrolled: 1-line block ×3, first 2 shown]
	v_fma_f32 v42, 0x3f6eb680, v80, -v152
	s_delay_alu instid0(VALU_DEP_1) | instskip(SKIP_1) | instid1(VALU_DEP_1)
	v_add_f32_e32 v32, v32, v42
	v_fma_f32 v42, 0x3f3d2fb0, v81, -v44
	v_dual_fmac_f32 v203, 0xbeb8f4ab, v78 :: v_dual_add_f32 v32, v42, v32
	v_fma_f32 v42, 0x3ee437d1, v83, -v46
	v_add_f32_e32 v45, v49, v47
	v_fma_f32 v47, 0xbf1a4643, v83, -v180
	s_delay_alu instid0(VALU_DEP_3) | instskip(SKIP_1) | instid1(VALU_DEP_3)
	v_dual_add_f32 v33, v33, v203 :: v_dual_add_f32 v32, v42, v32
	v_fma_f32 v42, 0x3dbcf732, v84, -v43
	v_add_f32_e32 v44, v47, v45
	v_fma_f32 v45, 0xbf7ba420, v84, -v181
	s_delay_alu instid0(VALU_DEP_3) | instskip(NEXT) | instid1(VALU_DEP_2)
	v_dual_fmac_f32 v205, 0xbf2c7751, v74 :: v_dual_add_f32 v32, v42, v32
	v_add_f32_e32 v44, v45, v44
	s_delay_alu instid0(VALU_DEP_2) | instskip(SKIP_1) | instid1(VALU_DEP_4)
	v_add_f32_e32 v33, v205, v33
	v_fma_f32 v45, 0xbf59a7d5, v85, -v194
	v_add_f32_e32 v32, v40, v32
	s_delay_alu instid0(VALU_DEP_2) | instskip(NEXT) | instid1(VALU_DEP_4)
	v_add_f32_e32 v43, v45, v44
	v_add_f32_e32 v33, v206, v33
	v_fma_f32 v44, 0xbe8c1d8e, v86, -v192
	s_delay_alu instid0(VALU_DEP_1) | instskip(NEXT) | instid1(VALU_DEP_1)
	v_dual_fmac_f32 v207, 0xbf7ee86f, v73 :: v_dual_add_f32 v42, v44, v43
	v_add_f32_e32 v33, v207, v33
	v_fma_f32 v43, 0x3ee437d1, v88, -v190
	v_fmac_f32_e32 v35, 0xbf4c4adb, v77
	s_delay_alu instid0(VALU_DEP_2) | instskip(NEXT) | instid1(VALU_DEP_1)
	v_dual_add_f32 v33, v186, v33 :: v_dual_add_f32 v40, v43, v42
	v_add_f32_e32 v33, v35, v33
	v_add_f32_e32 v15, v15, v32
	v_fma_f32 v32, 0xbf59a7d5, v88, -v39
	v_fma_f32 v35, 0x3f6eb680, v87, -v185
	s_delay_alu instid0(VALU_DEP_4) | instskip(NEXT) | instid1(VALU_DEP_3)
	v_dual_add_f32 v34, v34, v33 :: v_dual_and_b32 v39, 0xffff, v70
	v_dual_fmac_f32 v36, 0xbe3c28d5, v82 :: v_dual_add_f32 v15, v32, v15
	s_delay_alu instid0(VALU_DEP_3) | instskip(NEXT) | instid1(VALU_DEP_3)
	v_add_f32_e32 v32, v35, v40
	v_lshl_add_u32 v39, v39, 3, v69
	v_add_f32_e32 v33, v130, v10
	s_delay_alu instid0(VALU_DEP_4)
	v_dual_add_f32 v35, v36, v34 :: v_dual_add_f32 v34, v41, v15
	ds_store_2addr_b64 v39, v[0:1], v[11:12] offset1:1
	ds_store_2addr_b64 v39, v[63:64], v[61:62] offset0:2 offset1:3
	ds_store_2addr_b64 v39, v[59:60], v[57:58] offset0:4 offset1:5
	;; [unrolled: 1-line block ×7, first 2 shown]
	ds_store_b64 v39, v[34:35] offset:128
.LBB0_13:
	s_wait_alu 0xfffe
	s_or_b32 exec_lo, exec_lo, s6
	global_wb scope:SCOPE_SE
	s_wait_dscnt 0x0
	s_barrier_signal -1
	s_barrier_wait -1
	global_inv scope:SCOPE_SE
	ds_load_2addr_b64 v[0:3], v72 offset1:17
	ds_load_2addr_b64 v[4:7], v72 offset0:34 offset1:51
	ds_load_2addr_b64 v[8:11], v72 offset0:68 offset1:85
	;; [unrolled: 1-line block ×3, first 2 shown]
	ds_load_b64 v[32:33], v72 offset:1088
	s_wait_dscnt 0x3
	v_dual_mul_f32 v34, v29, v3 :: v_dual_mul_f32 v35, v31, v5
	v_mul_f32_e32 v29, v29, v2
	v_dual_mul_f32 v31, v31, v4 :: v_dual_mul_f32 v36, v25, v7
	v_mul_f32_e32 v25, v25, v6
	s_wait_dscnt 0x2
	v_dual_mul_f32 v37, v27, v9 :: v_dual_mul_f32 v38, v21, v11
	v_dual_mul_f32 v27, v27, v8 :: v_dual_fmac_f32 v34, v28, v2
	s_wait_dscnt 0x1
	v_dual_mul_f32 v39, v23, v13 :: v_dual_fmac_f32 v36, v24, v6
	s_wait_dscnt 0x0
	v_mul_f32_e32 v6, v19, v32
	v_fma_f32 v2, v28, v3, -v29
	v_fma_f32 v3, v30, v5, -v31
	v_mul_f32_e32 v5, v19, v33
	v_dual_fmac_f32 v35, v30, v4 :: v_dual_fmac_f32 v38, v20, v10
	v_fmac_f32_e32 v37, v26, v8
	v_mul_f32_e32 v8, v23, v12
	v_fma_f32 v4, v24, v7, -v25
	v_fma_f32 v7, v26, v9, -v27
	v_fmac_f32_e32 v5, v18, v32
	v_mul_f32_e32 v21, v21, v10
	v_mul_f32_e32 v9, v17, v15
	;; [unrolled: 1-line block ×3, first 2 shown]
	v_fma_f32 v6, v18, v33, -v6
	v_fma_f32 v8, v22, v13, -v8
	v_add_f32_e32 v28, v37, v38
	v_fmac_f32_e32 v9, v16, v14
	v_fma_f32 v10, v16, v15, -v10
	v_fmac_f32_e32 v39, v22, v12
	v_sub_f32_e32 v12, v34, v5
	v_fma_f32 v20, v20, v11, -v21
	v_sub_f32_e32 v25, v37, v38
	v_sub_f32_e32 v16, v3, v10
	v_dual_sub_f32 v15, v35, v9 :: v_dual_add_f32 v24, v36, v39
	v_mul_f32_e32 v18, 0x3f248dbb, v12
	v_sub_f32_e32 v26, v7, v20
	s_delay_alu instid0(VALU_DEP_2) | instskip(SKIP_1) | instid1(VALU_DEP_1)
	v_dual_add_f32 v27, v4, v8 :: v_dual_fmac_f32 v18, 0x3f7c1c5c, v15
	v_dual_add_f32 v14, v34, v5 :: v_dual_sub_f32 v19, v36, v39
	v_dual_fmac_f32 v18, 0x3f5db3d7, v19 :: v_dual_sub_f32 v13, v2, v6
	v_dual_add_f32 v22, v35, v9 :: v_dual_add_f32 v17, v2, v6
	s_delay_alu instid0(VALU_DEP_3) | instskip(NEXT) | instid1(VALU_DEP_3)
	v_dual_fmamk_f32 v2, v14, 0x3f441b7d, v0 :: v_dual_sub_f32 v21, v4, v8
	v_mul_f32_e32 v11, 0x3f248dbb, v13
	v_dual_mul_f32 v8, 0xbf248dbb, v26 :: v_dual_add_f32 v29, v7, v20
	s_delay_alu instid0(VALU_DEP_3) | instskip(SKIP_1) | instid1(VALU_DEP_3)
	v_fmac_f32_e32 v2, 0x3e31d0d4, v22
	v_fmamk_f32 v4, v28, 0x3f441b7d, v0
	v_dual_fmac_f32 v11, 0x3f7c1c5c, v16 :: v_dual_fmac_f32 v8, 0x3f7c1c5c, v13
	s_delay_alu instid0(VALU_DEP_4) | instskip(NEXT) | instid1(VALU_DEP_4)
	v_dual_fmamk_f32 v5, v29, 0x3f441b7d, v1 :: v_dual_add_f32 v30, v26, v13
	v_dual_add_f32 v23, v3, v10 :: v_dual_fmac_f32 v2, -0.5, v24
	v_fmac_f32_e32 v18, 0x3eaf1d44, v25
	s_delay_alu instid0(VALU_DEP_3) | instskip(SKIP_3) | instid1(VALU_DEP_4)
	v_dual_fmac_f32 v4, 0x3e31d0d4, v14 :: v_dual_fmac_f32 v5, 0x3e31d0d4, v17
	v_fmac_f32_e32 v11, 0x3f5db3d7, v21
	v_fmac_f32_e32 v8, 0xbf5db3d7, v21
	;; [unrolled: 1-line block ×3, first 2 shown]
	v_dual_fmac_f32 v4, -0.5, v24 :: v_dual_fmac_f32 v5, -0.5, v27
	s_delay_alu instid0(VALU_DEP_3) | instskip(SKIP_1) | instid1(VALU_DEP_3)
	v_dual_fmac_f32 v11, 0x3eaf1d44, v26 :: v_dual_fmac_f32 v8, 0x3eaf1d44, v16
	v_fmamk_f32 v3, v17, 0x3f441b7d, v1
	v_fmac_f32_e32 v4, 0xbf708fb2, v22
	s_delay_alu instid0(VALU_DEP_3) | instskip(NEXT) | instid1(VALU_DEP_3)
	v_dual_mul_f32 v9, 0xbf248dbb, v25 :: v_dual_sub_f32 v2, v2, v11
	v_dual_add_f32 v10, v25, v12 :: v_dual_fmac_f32 v3, 0x3e31d0d4, v23
	s_delay_alu instid0(VALU_DEP_3) | instskip(NEXT) | instid1(VALU_DEP_3)
	v_sub_f32_e32 v4, v4, v8
	v_dual_fmac_f32 v9, 0x3f7c1c5c, v12 :: v_dual_add_f32 v32, v22, v14
	s_delay_alu instid0(VALU_DEP_3) | instskip(NEXT) | instid1(VALU_DEP_2)
	v_dual_sub_f32 v30, v30, v16 :: v_dual_fmac_f32 v3, -0.5, v27
	v_dual_add_f32 v34, v23, v17 :: v_dual_fmac_f32 v9, 0xbf5db3d7, v19
	v_fmac_f32_e32 v5, 0xbf708fb2, v23
	v_sub_f32_e32 v31, v10, v15
	s_delay_alu instid0(VALU_DEP_4) | instskip(NEXT) | instid1(VALU_DEP_4)
	v_dual_fmac_f32 v3, 0xbf708fb2, v29 :: v_dual_add_f32 v10, v24, v0
	v_fmac_f32_e32 v9, 0x3eaf1d44, v15
	v_dual_add_f32 v35, v28, v32 :: v_dual_fmamk_f32 v22, v22, 0x3f441b7d, v0
	v_add_f32_e32 v36, v29, v34
	s_delay_alu instid0(VALU_DEP_3) | instskip(SKIP_1) | instid1(VALU_DEP_4)
	v_dual_mul_f32 v26, 0x3f7c1c5c, v26 :: v_dual_add_f32 v5, v9, v5
	v_fma_f32 v6, 2.0, v11, v2
	v_dual_add_f32 v11, v27, v1 :: v_dual_fmac_f32 v10, -0.5, v35
	v_mul_f32_e32 v25, 0x3f7c1c5c, v25
	s_delay_alu instid0(VALU_DEP_4) | instskip(SKIP_3) | instid1(VALU_DEP_4)
	v_fma_f32 v16, 0xbf248dbb, v16, -v26
	v_fmac_f32_e32 v22, 0x3e31d0d4, v28
	v_mul_f32_e32 v39, 0x3f5db3d7, v30
	v_fmac_f32_e32 v10, 0xbf5db3d7, v30
	v_dual_mul_f32 v33, 0x3f5db3d7, v31 :: v_dual_fmac_f32 v16, 0x3f5db3d7, v21
	v_fma_f32 v15, 0xbf248dbb, v15, -v25
	v_fmac_f32_e32 v22, -0.5, v24
	v_fmac_f32_e32 v11, -0.5, v36
	s_delay_alu instid0(VALU_DEP_4) | instskip(SKIP_1) | instid1(VALU_DEP_4)
	v_dual_add_f32 v3, v18, v3 :: v_dual_fmac_f32 v16, 0x3eaf1d44, v13
	v_fma_f32 v8, 2.0, v8, v4
	v_fmac_f32_e32 v22, 0xbf708fb2, v14
	v_fmac_f32_e32 v15, 0x3f5db3d7, v19
	v_fmac_f32_e32 v11, 0x3f5db3d7, v31
	v_fma_f32 v9, -2.0, v9, v5
	v_fma_f32 v14, 2.0, v39, v10
	s_delay_alu instid0(VALU_DEP_4) | instskip(SKIP_1) | instid1(VALU_DEP_1)
	v_fmac_f32_e32 v15, 0x3eaf1d44, v12
	v_dual_add_f32 v12, v24, v32 :: v_dual_fmamk_f32 v23, v23, 0x3f441b7d, v1
	v_dual_add_f32 v12, v37, v12 :: v_dual_fmac_f32 v23, 0x3e31d0d4, v29
	s_delay_alu instid0(VALU_DEP_1) | instskip(NEXT) | instid1(VALU_DEP_1)
	v_fmac_f32_e32 v23, -0.5, v27
	v_fmac_f32_e32 v23, 0xbf708fb2, v17
	s_delay_alu instid0(VALU_DEP_3) | instskip(SKIP_1) | instid1(VALU_DEP_2)
	v_add_f32_e32 v17, v38, v12
	v_dual_add_f32 v19, v27, v34 :: v_dual_sub_f32 v12, v22, v16
	v_dual_add_f32 v13, v15, v23 :: v_dual_add_f32 v0, v17, v0
	s_delay_alu instid0(VALU_DEP_2) | instskip(NEXT) | instid1(VALU_DEP_3)
	v_add_f32_e32 v7, v7, v19
	v_fma_f32 v16, 2.0, v16, v12
	s_delay_alu instid0(VALU_DEP_3) | instskip(SKIP_1) | instid1(VALU_DEP_4)
	v_fma_f32 v17, -2.0, v15, v13
	v_fma_f32 v15, -2.0, v33, v11
	v_add_f32_e32 v7, v20, v7
	s_delay_alu instid0(VALU_DEP_1)
	v_add_f32_e32 v1, v7, v1
	v_fma_f32 v7, -2.0, v18, v3
	ds_store_2addr_b64 v71, v[0:1], v[2:3] offset1:17
	ds_store_2addr_b64 v71, v[4:5], v[10:11] offset0:34 offset1:51
	ds_store_2addr_b64 v71, v[12:13], v[16:17] offset0:68 offset1:85
	;; [unrolled: 1-line block ×3, first 2 shown]
	ds_store_b64 v71, v[6:7] offset:1088
	global_wb scope:SCOPE_SE
	s_wait_dscnt 0x0
	s_barrier_signal -1
	s_barrier_wait -1
	global_inv scope:SCOPE_SE
	s_and_b32 exec_lo, exec_lo, vcc_lo
	s_cbranch_execz .LBB0_15
; %bb.14:
	global_load_b64 v[0:1], v66, s[4:5]
	ds_load_b64 v[2:3], v71
	v_mad_co_u64_u32 v[6:7], null, s0, v68, 0
	s_mov_b32 s6, 0x1ac5701b
	s_mov_b32 s7, 0x3f7ac570
	v_lshl_add_u32 v10, v67, 3, v66
	s_wait_loadcnt_dscnt 0x0
	v_mul_f32_e32 v4, v3, v1
	v_mul_f32_e32 v1, v2, v1
	s_delay_alu instid0(VALU_DEP_2) | instskip(NEXT) | instid1(VALU_DEP_2)
	v_fmac_f32_e32 v4, v2, v0
	v_fma_f32 v2, v0, v3, -v1
	s_delay_alu instid0(VALU_DEP_2) | instskip(NEXT) | instid1(VALU_DEP_2)
	v_cvt_f64_f32_e32 v[0:1], v4
	v_cvt_f64_f32_e32 v[2:3], v2
	v_mad_co_u64_u32 v[4:5], null, s2, v48, 0
	s_wait_alu 0xfffe
	s_delay_alu instid0(VALU_DEP_3) | instskip(NEXT) | instid1(VALU_DEP_3)
	v_mul_f64_e32 v[0:1], s[6:7], v[0:1]
	v_mul_f64_e32 v[2:3], s[6:7], v[2:3]
	s_delay_alu instid0(VALU_DEP_2) | instskip(NEXT) | instid1(VALU_DEP_2)
	v_cvt_f32_f64_e32 v0, v[0:1]
	v_cvt_f32_f64_e32 v1, v[2:3]
	v_dual_mov_b32 v3, v7 :: v_dual_mov_b32 v2, v5
	s_delay_alu instid0(VALU_DEP_1) | instskip(SKIP_2) | instid1(VALU_DEP_2)
	v_mad_co_u64_u32 v[7:8], null, s3, v48, v[2:3]
	v_mad_co_u64_u32 v[2:3], null, s1, v68, v[3:4]
	s_mul_u64 s[2:3], s[0:1], 0x48
	v_mov_b32_e32 v5, v7
	s_delay_alu instid0(VALU_DEP_2) | instskip(NEXT) | instid1(VALU_DEP_2)
	v_mov_b32_e32 v7, v2
	v_lshlrev_b64_e32 v[2:3], 3, v[4:5]
	s_delay_alu instid0(VALU_DEP_2) | instskip(NEXT) | instid1(VALU_DEP_2)
	v_lshlrev_b64_e32 v[4:5], 3, v[6:7]
	v_add_co_u32 v8, vcc_lo, s12, v2
	s_delay_alu instid0(VALU_DEP_3) | instskip(NEXT) | instid1(VALU_DEP_2)
	v_add_co_ci_u32_e32 v9, vcc_lo, s13, v3, vcc_lo
	v_add_co_u32 v4, vcc_lo, v8, v4
	s_wait_alu 0xfffd
	s_delay_alu instid0(VALU_DEP_2)
	v_add_co_ci_u32_e32 v5, vcc_lo, v9, v5, vcc_lo
	global_store_b64 v[4:5], v[0:1], off
	global_load_b64 v[6:7], v66, s[4:5] offset:72
	ds_load_2addr_b64 v[0:3], v10 offset0:9 offset1:18
	s_wait_alu 0xfffe
	v_add_co_u32 v4, vcc_lo, v4, s2
	s_wait_alu 0xfffd
	v_add_co_ci_u32_e32 v5, vcc_lo, s3, v5, vcc_lo
	s_wait_loadcnt_dscnt 0x0
	v_mul_f32_e32 v11, v1, v7
	v_mul_f32_e32 v7, v0, v7
	s_delay_alu instid0(VALU_DEP_2) | instskip(NEXT) | instid1(VALU_DEP_2)
	v_fmac_f32_e32 v11, v0, v6
	v_fma_f32 v6, v6, v1, -v7
	s_delay_alu instid0(VALU_DEP_2) | instskip(NEXT) | instid1(VALU_DEP_2)
	v_cvt_f64_f32_e32 v[0:1], v11
	v_cvt_f64_f32_e32 v[6:7], v6
	s_delay_alu instid0(VALU_DEP_2) | instskip(NEXT) | instid1(VALU_DEP_2)
	v_mul_f64_e32 v[0:1], s[6:7], v[0:1]
	v_mul_f64_e32 v[6:7], s[6:7], v[6:7]
	s_delay_alu instid0(VALU_DEP_2) | instskip(NEXT) | instid1(VALU_DEP_2)
	v_cvt_f32_f64_e32 v0, v[0:1]
	v_cvt_f32_f64_e32 v1, v[6:7]
	global_store_b64 v[4:5], v[0:1], off
	global_load_b64 v[0:1], v66, s[4:5] offset:144
	v_add_co_u32 v4, vcc_lo, v4, s2
	s_wait_alu 0xfffd
	v_add_co_ci_u32_e32 v5, vcc_lo, s3, v5, vcc_lo
	s_wait_loadcnt 0x0
	v_mul_f32_e32 v6, v3, v1
	v_mul_f32_e32 v1, v2, v1
	s_delay_alu instid0(VALU_DEP_2) | instskip(NEXT) | instid1(VALU_DEP_2)
	v_fmac_f32_e32 v6, v2, v0
	v_fma_f32 v2, v0, v3, -v1
	s_delay_alu instid0(VALU_DEP_2) | instskip(NEXT) | instid1(VALU_DEP_2)
	v_cvt_f64_f32_e32 v[0:1], v6
	v_cvt_f64_f32_e32 v[2:3], v2
	s_delay_alu instid0(VALU_DEP_2) | instskip(NEXT) | instid1(VALU_DEP_2)
	v_mul_f64_e32 v[0:1], s[6:7], v[0:1]
	v_mul_f64_e32 v[2:3], s[6:7], v[2:3]
	s_delay_alu instid0(VALU_DEP_2) | instskip(NEXT) | instid1(VALU_DEP_2)
	v_cvt_f32_f64_e32 v0, v[0:1]
	v_cvt_f32_f64_e32 v1, v[2:3]
	global_store_b64 v[4:5], v[0:1], off
	global_load_b64 v[6:7], v66, s[4:5] offset:216
	ds_load_2addr_b64 v[0:3], v10 offset0:27 offset1:36
	v_add_co_u32 v4, vcc_lo, v4, s2
	s_wait_alu 0xfffd
	v_add_co_ci_u32_e32 v5, vcc_lo, s3, v5, vcc_lo
	s_wait_loadcnt_dscnt 0x0
	v_mul_f32_e32 v11, v1, v7
	v_mul_f32_e32 v7, v0, v7
	s_delay_alu instid0(VALU_DEP_2) | instskip(NEXT) | instid1(VALU_DEP_2)
	v_fmac_f32_e32 v11, v0, v6
	v_fma_f32 v6, v6, v1, -v7
	s_delay_alu instid0(VALU_DEP_2) | instskip(NEXT) | instid1(VALU_DEP_2)
	v_cvt_f64_f32_e32 v[0:1], v11
	v_cvt_f64_f32_e32 v[6:7], v6
	s_delay_alu instid0(VALU_DEP_2) | instskip(NEXT) | instid1(VALU_DEP_2)
	v_mul_f64_e32 v[0:1], s[6:7], v[0:1]
	v_mul_f64_e32 v[6:7], s[6:7], v[6:7]
	s_delay_alu instid0(VALU_DEP_2) | instskip(NEXT) | instid1(VALU_DEP_2)
	v_cvt_f32_f64_e32 v0, v[0:1]
	v_cvt_f32_f64_e32 v1, v[6:7]
	global_store_b64 v[4:5], v[0:1], off
	global_load_b64 v[0:1], v66, s[4:5] offset:288
	v_add_co_u32 v4, vcc_lo, v4, s2
	s_wait_alu 0xfffd
	v_add_co_ci_u32_e32 v5, vcc_lo, s3, v5, vcc_lo
	s_wait_loadcnt 0x0
	v_mul_f32_e32 v6, v3, v1
	v_mul_f32_e32 v1, v2, v1
	s_delay_alu instid0(VALU_DEP_2) | instskip(NEXT) | instid1(VALU_DEP_2)
	v_fmac_f32_e32 v6, v2, v0
	v_fma_f32 v2, v0, v3, -v1
	s_delay_alu instid0(VALU_DEP_2) | instskip(NEXT) | instid1(VALU_DEP_2)
	v_cvt_f64_f32_e32 v[0:1], v6
	v_cvt_f64_f32_e32 v[2:3], v2
	s_delay_alu instid0(VALU_DEP_2) | instskip(NEXT) | instid1(VALU_DEP_2)
	v_mul_f64_e32 v[0:1], s[6:7], v[0:1]
	v_mul_f64_e32 v[2:3], s[6:7], v[2:3]
	s_delay_alu instid0(VALU_DEP_2) | instskip(NEXT) | instid1(VALU_DEP_2)
	v_cvt_f32_f64_e32 v0, v[0:1]
	v_cvt_f32_f64_e32 v1, v[2:3]
	global_store_b64 v[4:5], v[0:1], off
	global_load_b64 v[6:7], v66, s[4:5] offset:360
	ds_load_2addr_b64 v[0:3], v10 offset0:45 offset1:54
	;; [unrolled: 41-line block ×7, first 2 shown]
	v_add_co_u32 v4, vcc_lo, v4, s2
	s_wait_alu 0xfffd
	v_add_co_ci_u32_e32 v5, vcc_lo, s3, v5, vcc_lo
	s_wait_loadcnt_dscnt 0x0
	v_mul_f32_e32 v10, v1, v7
	v_mul_f32_e32 v7, v0, v7
	s_delay_alu instid0(VALU_DEP_2) | instskip(NEXT) | instid1(VALU_DEP_2)
	v_fmac_f32_e32 v10, v0, v6
	v_fma_f32 v6, v6, v1, -v7
	s_delay_alu instid0(VALU_DEP_2) | instskip(NEXT) | instid1(VALU_DEP_2)
	v_cvt_f64_f32_e32 v[0:1], v10
	v_cvt_f64_f32_e32 v[6:7], v6
	s_delay_alu instid0(VALU_DEP_2) | instskip(NEXT) | instid1(VALU_DEP_2)
	v_mul_f64_e32 v[0:1], s[6:7], v[0:1]
	v_mul_f64_e32 v[6:7], s[6:7], v[6:7]
	s_delay_alu instid0(VALU_DEP_2) | instskip(NEXT) | instid1(VALU_DEP_2)
	v_cvt_f32_f64_e32 v0, v[0:1]
	v_cvt_f32_f64_e32 v1, v[6:7]
	global_store_b64 v[4:5], v[0:1], off
	global_load_b64 v[0:1], v66, s[4:5] offset:1152
	s_wait_loadcnt 0x0
	v_mul_f32_e32 v4, v3, v1
	v_mul_f32_e32 v1, v2, v1
	s_delay_alu instid0(VALU_DEP_2) | instskip(NEXT) | instid1(VALU_DEP_2)
	v_fmac_f32_e32 v4, v2, v0
	v_fma_f32 v2, v0, v3, -v1
	s_delay_alu instid0(VALU_DEP_2) | instskip(NEXT) | instid1(VALU_DEP_2)
	v_cvt_f64_f32_e32 v[0:1], v4
	v_cvt_f64_f32_e32 v[2:3], v2
	v_mad_co_u64_u32 v[4:5], null, s0, v65, 0
	s_delay_alu instid0(VALU_DEP_3) | instskip(NEXT) | instid1(VALU_DEP_3)
	v_mul_f64_e32 v[0:1], s[6:7], v[0:1]
	v_mul_f64_e32 v[2:3], s[6:7], v[2:3]
	s_delay_alu instid0(VALU_DEP_2) | instskip(NEXT) | instid1(VALU_DEP_2)
	v_cvt_f32_f64_e32 v0, v[0:1]
	v_cvt_f32_f64_e32 v1, v[2:3]
	v_mov_b32_e32 v2, v5
	s_delay_alu instid0(VALU_DEP_1) | instskip(NEXT) | instid1(VALU_DEP_1)
	v_mad_co_u64_u32 v[2:3], null, s1, v65, v[2:3]
	v_mov_b32_e32 v5, v2
	s_delay_alu instid0(VALU_DEP_1) | instskip(NEXT) | instid1(VALU_DEP_1)
	v_lshlrev_b64_e32 v[2:3], 3, v[4:5]
	v_add_co_u32 v2, vcc_lo, v8, v2
	s_wait_alu 0xfffd
	s_delay_alu instid0(VALU_DEP_2)
	v_add_co_ci_u32_e32 v3, vcc_lo, v9, v3, vcc_lo
	global_store_b64 v[2:3], v[0:1], off
.LBB0_15:
	s_nop 0
	s_sendmsg sendmsg(MSG_DEALLOC_VGPRS)
	s_endpgm
	.section	.rodata,"a",@progbits
	.p2align	6, 0x0
	.amdhsa_kernel bluestein_single_fwd_len153_dim1_sp_op_CI_CI
		.amdhsa_group_segment_fixed_size 8568
		.amdhsa_private_segment_fixed_size 0
		.amdhsa_kernarg_size 104
		.amdhsa_user_sgpr_count 2
		.amdhsa_user_sgpr_dispatch_ptr 0
		.amdhsa_user_sgpr_queue_ptr 0
		.amdhsa_user_sgpr_kernarg_segment_ptr 1
		.amdhsa_user_sgpr_dispatch_id 0
		.amdhsa_user_sgpr_private_segment_size 0
		.amdhsa_wavefront_size32 1
		.amdhsa_uses_dynamic_stack 0
		.amdhsa_enable_private_segment 0
		.amdhsa_system_sgpr_workgroup_id_x 1
		.amdhsa_system_sgpr_workgroup_id_y 0
		.amdhsa_system_sgpr_workgroup_id_z 0
		.amdhsa_system_sgpr_workgroup_info 0
		.amdhsa_system_vgpr_workitem_id 0
		.amdhsa_next_free_vgpr 220
		.amdhsa_next_free_sgpr 14
		.amdhsa_reserve_vcc 1
		.amdhsa_float_round_mode_32 0
		.amdhsa_float_round_mode_16_64 0
		.amdhsa_float_denorm_mode_32 3
		.amdhsa_float_denorm_mode_16_64 3
		.amdhsa_fp16_overflow 0
		.amdhsa_workgroup_processor_mode 1
		.amdhsa_memory_ordered 1
		.amdhsa_forward_progress 0
		.amdhsa_round_robin_scheduling 0
		.amdhsa_exception_fp_ieee_invalid_op 0
		.amdhsa_exception_fp_denorm_src 0
		.amdhsa_exception_fp_ieee_div_zero 0
		.amdhsa_exception_fp_ieee_overflow 0
		.amdhsa_exception_fp_ieee_underflow 0
		.amdhsa_exception_fp_ieee_inexact 0
		.amdhsa_exception_int_div_zero 0
	.end_amdhsa_kernel
	.text
.Lfunc_end0:
	.size	bluestein_single_fwd_len153_dim1_sp_op_CI_CI, .Lfunc_end0-bluestein_single_fwd_len153_dim1_sp_op_CI_CI
                                        ; -- End function
	.section	.AMDGPU.csdata,"",@progbits
; Kernel info:
; codeLenInByte = 17616
; NumSgprs: 16
; NumVgprs: 220
; ScratchSize: 0
; MemoryBound: 0
; FloatMode: 240
; IeeeMode: 1
; LDSByteSize: 8568 bytes/workgroup (compile time only)
; SGPRBlocks: 1
; VGPRBlocks: 27
; NumSGPRsForWavesPerEU: 16
; NumVGPRsForWavesPerEU: 220
; Occupancy: 6
; WaveLimiterHint : 1
; COMPUTE_PGM_RSRC2:SCRATCH_EN: 0
; COMPUTE_PGM_RSRC2:USER_SGPR: 2
; COMPUTE_PGM_RSRC2:TRAP_HANDLER: 0
; COMPUTE_PGM_RSRC2:TGID_X_EN: 1
; COMPUTE_PGM_RSRC2:TGID_Y_EN: 0
; COMPUTE_PGM_RSRC2:TGID_Z_EN: 0
; COMPUTE_PGM_RSRC2:TIDIG_COMP_CNT: 0
	.text
	.p2alignl 7, 3214868480
	.fill 96, 4, 3214868480
	.type	__hip_cuid_cdba1a86ede816cc,@object ; @__hip_cuid_cdba1a86ede816cc
	.section	.bss,"aw",@nobits
	.globl	__hip_cuid_cdba1a86ede816cc
__hip_cuid_cdba1a86ede816cc:
	.byte	0                               ; 0x0
	.size	__hip_cuid_cdba1a86ede816cc, 1

	.ident	"AMD clang version 19.0.0git (https://github.com/RadeonOpenCompute/llvm-project roc-6.4.0 25133 c7fe45cf4b819c5991fe208aaa96edf142730f1d)"
	.section	".note.GNU-stack","",@progbits
	.addrsig
	.addrsig_sym __hip_cuid_cdba1a86ede816cc
	.amdgpu_metadata
---
amdhsa.kernels:
  - .args:
      - .actual_access:  read_only
        .address_space:  global
        .offset:         0
        .size:           8
        .value_kind:     global_buffer
      - .actual_access:  read_only
        .address_space:  global
        .offset:         8
        .size:           8
        .value_kind:     global_buffer
      - .actual_access:  read_only
        .address_space:  global
        .offset:         16
        .size:           8
        .value_kind:     global_buffer
      - .actual_access:  read_only
        .address_space:  global
        .offset:         24
        .size:           8
        .value_kind:     global_buffer
      - .actual_access:  read_only
        .address_space:  global
        .offset:         32
        .size:           8
        .value_kind:     global_buffer
      - .offset:         40
        .size:           8
        .value_kind:     by_value
      - .address_space:  global
        .offset:         48
        .size:           8
        .value_kind:     global_buffer
      - .address_space:  global
        .offset:         56
        .size:           8
        .value_kind:     global_buffer
      - .address_space:  global
        .offset:         64
        .size:           8
        .value_kind:     global_buffer
      - .address_space:  global
        .offset:         72
        .size:           8
        .value_kind:     global_buffer
      - .offset:         80
        .size:           4
        .value_kind:     by_value
      - .address_space:  global
        .offset:         88
        .size:           8
        .value_kind:     global_buffer
      - .address_space:  global
        .offset:         96
        .size:           8
        .value_kind:     global_buffer
    .group_segment_fixed_size: 8568
    .kernarg_segment_align: 8
    .kernarg_segment_size: 104
    .language:       OpenCL C
    .language_version:
      - 2
      - 0
    .max_flat_workgroup_size: 119
    .name:           bluestein_single_fwd_len153_dim1_sp_op_CI_CI
    .private_segment_fixed_size: 0
    .sgpr_count:     16
    .sgpr_spill_count: 0
    .symbol:         bluestein_single_fwd_len153_dim1_sp_op_CI_CI.kd
    .uniform_work_group_size: 1
    .uses_dynamic_stack: false
    .vgpr_count:     220
    .vgpr_spill_count: 0
    .wavefront_size: 32
    .workgroup_processor_mode: 1
amdhsa.target:   amdgcn-amd-amdhsa--gfx1201
amdhsa.version:
  - 1
  - 2
...

	.end_amdgpu_metadata
